;; amdgpu-corpus repo=ROCm/rocSPARSE kind=compiled arch=gfx1030 opt=O3
	.amdgcn_target "amdgcn-amd-amdhsa--gfx1030"
	.amdhsa_code_object_version 6
	.section	.text._ZN9rocsparseL31gebsrmm_general_blockdim_kernelILi32ELi32EfEEv20rocsparse_direction_20rocsparse_operation_iiNS_24const_host_device_scalarIT1_EEPKiS7_PKS4_iiS9_lS5_PS4_l21rocsparse_index_base_b,"axG",@progbits,_ZN9rocsparseL31gebsrmm_general_blockdim_kernelILi32ELi32EfEEv20rocsparse_direction_20rocsparse_operation_iiNS_24const_host_device_scalarIT1_EEPKiS7_PKS4_iiS9_lS5_PS4_l21rocsparse_index_base_b,comdat
	.globl	_ZN9rocsparseL31gebsrmm_general_blockdim_kernelILi32ELi32EfEEv20rocsparse_direction_20rocsparse_operation_iiNS_24const_host_device_scalarIT1_EEPKiS7_PKS4_iiS9_lS5_PS4_l21rocsparse_index_base_b ; -- Begin function _ZN9rocsparseL31gebsrmm_general_blockdim_kernelILi32ELi32EfEEv20rocsparse_direction_20rocsparse_operation_iiNS_24const_host_device_scalarIT1_EEPKiS7_PKS4_iiS9_lS5_PS4_l21rocsparse_index_base_b
	.p2align	8
	.type	_ZN9rocsparseL31gebsrmm_general_blockdim_kernelILi32ELi32EfEEv20rocsparse_direction_20rocsparse_operation_iiNS_24const_host_device_scalarIT1_EEPKiS7_PKS4_iiS9_lS5_PS4_l21rocsparse_index_base_b,@function
_ZN9rocsparseL31gebsrmm_general_blockdim_kernelILi32ELi32EfEEv20rocsparse_direction_20rocsparse_operation_iiNS_24const_host_device_scalarIT1_EEPKiS7_PKS4_iiS9_lS5_PS4_l21rocsparse_index_base_b: ; @_ZN9rocsparseL31gebsrmm_general_blockdim_kernelILi32ELi32EfEEv20rocsparse_direction_20rocsparse_operation_iiNS_24const_host_device_scalarIT1_EEPKiS7_PKS4_iiS9_lS5_PS4_l21rocsparse_index_base_b
; %bb.0:
	s_clause 0x2
	s_load_dwordx2 s[2:3], s[4:5], 0x60
	s_load_dwordx2 s[24:25], s[4:5], 0x10
	s_load_dwordx4 s[8:11], s[4:5], 0x40
	s_waitcnt lgkmcnt(0)
	s_bitcmp1_b32 s3, 0
	s_cselect_b32 s0, -1, 0
	s_and_b32 vcc_lo, exec_lo, s0
	s_xor_b32 s0, s0, -1
	s_cbranch_vccnz .LBB0_2
; %bb.1:
	s_load_dword s24, s[24:25], 0x0
.LBB0_2:
	s_andn2_b32 vcc_lo, exec_lo, s0
	s_cbranch_vccnz .LBB0_4
; %bb.3:
	s_load_dword s10, s[10:11], 0x0
.LBB0_4:
	s_waitcnt lgkmcnt(0)
	v_cmp_eq_f32_e64 s0, s24, 0
	v_cmp_eq_f32_e64 s1, s10, 1.0
	s_mov_b32 s3, 0
	s_and_b32 s0, s0, s1
	s_and_b32 vcc_lo, exec_lo, s0
	s_cbranch_vccnz .LBB0_47
; %bb.5:
	s_load_dwordx4 s[16:19], s[4:5], 0x0
	s_mov_b32 s11, 0
	s_waitcnt lgkmcnt(0)
	s_cmp_lt_i32 s6, s18
	s_cselect_b32 s1, -1, 0
	s_cmp_ge_i32 s6, s18
	s_cbranch_scc1 .LBB0_7
; %bb.6:
	s_load_dwordx2 s[12:13], s[4:5], 0x18
	s_mov_b32 s0, s7
	s_ashr_i32 s7, s6, 31
	s_lshl_b64 s[14:15], s[6:7], 2
	s_mov_b32 s7, s0
	s_waitcnt lgkmcnt(0)
	s_add_u32 s12, s12, s14
	s_addc_u32 s13, s13, s15
	s_load_dwordx2 s[12:13], s[12:13], 0x0
	s_waitcnt lgkmcnt(0)
	s_sub_i32 s11, s12, s2
	s_sub_i32 s3, s13, s2
.LBB0_7:
	s_load_dwordx2 s[26:27], s[4:5], 0x30
	s_waitcnt lgkmcnt(0)
	s_cmp_lt_i32 s26, 1
	s_cbranch_scc1 .LBB0_47
; %bb.8:
	s_clause 0x2
	s_load_dwordx4 s[20:23], s[4:5], 0x50
	s_load_dwordx4 s[12:15], s[4:5], 0x20
	s_load_dwordx2 s[4:5], s[4:5], 0x38
	v_lshl_add_u32 v2, s7, 5, v1
	v_lshlrev_b32_e32 v7, 2, v0
	s_cmp_lt_i32 s11, s3
	s_mul_i32 s6, s26, s6
	s_cselect_b32 s7, -1, 0
	v_ashrrev_i32_e32 v3, 31, v2
	v_mul_lo_u32 v6, s9, v2
	v_mad_u64_u32 v[4:5], null, s8, v2, 0
	v_cmp_gt_i32_e64 s0, s19, v2
	v_mul_lo_u32 v10, s8, v3
	v_lshlrev_b64 v[8:9], 2, v[2:3]
	v_or_b32_e32 v15, 0x1000, v7
	s_cmp_gt_i32 s27, 0
	v_cmp_neq_f32_e64 s19, s10, 0
	s_cselect_b32 s18, -1, 0
	s_cmpk_lg_i32 s17, 0x6f
	s_waitcnt lgkmcnt(0)
	v_mul_lo_u32 v11, s22, v3
	v_mul_lo_u32 v12, s23, v2
	v_mad_u64_u32 v[13:14], null, s22, v2, 0
	v_add3_u32 v5, v5, v10, v6
	v_add_co_u32 v8, vcc_lo, s4, v8
	v_add_co_ci_u32_e64 v9, null, s5, v9, vcc_lo
	v_lshlrev_b64 v[3:4], 2, v[4:5]
	v_add3_u32 v14, v14, v11, v12
	v_lshlrev_b32_e32 v10, 7, v1
	v_add_nc_u32_e32 v17, 0x400, v7
	v_add_nc_u32_e32 v18, 0x800, v7
	;; [unrolled: 1-line block ×3, first 2 shown]
	v_add_co_u32 v11, vcc_lo, s4, v3
	v_add_co_ci_u32_e64 v12, null, s5, v4, vcc_lo
	v_lshlrev_b64 v[2:3], 2, v[13:14]
	v_mad_u64_u32 v[4:5], null, s11, s26, v[0:1]
	v_add_nc_u32_e32 v15, v15, v10
	v_add_nc_u32_e32 v16, v7, v10
	s_cselect_b32 s22, -1, 0
	v_add_co_u32 v13, vcc_lo, s20, v2
	v_add_co_ci_u32_e64 v14, null, s21, v3, vcc_lo
	v_mad_u64_u32 v[2:3], null, s27, v4, v[1:2]
	s_cmp_lg_u32 s16, 0
	s_mov_b32 s17, 0
	s_cselect_b32 s16, -1, 0
	s_and_b32 s20, s1, s0
	s_lshl_b32 s21, s27, 5
	s_mul_i32 s23, s27, s26
	s_branch .LBB0_10
.LBB0_9:                                ;   in Loop: Header=BB0_10 Depth=1
	s_or_b32 exec_lo, exec_lo, s1
	v_add_nc_u32_e32 v2, s21, v2
	s_add_i32 s17, s17, 32
	s_cmp_lt_i32 s17, s26
	s_cbranch_scc0 .LBB0_47
.LBB0_10:                               ; =>This Loop Header: Depth=1
                                        ;     Child Loop BB0_13 Depth 2
                                        ;       Child Loop BB0_16 Depth 3
	v_add_nc_u32_e32 v3, s17, v0
	v_mov_b32_e32 v20, 0
	s_andn2_b32 vcc_lo, exec_lo, s7
	v_cmp_gt_i32_e64 s1, s26, v3
	s_cbranch_vccnz .LBB0_42
; %bb.11:                               ;   in Loop: Header=BB0_10 Depth=1
	v_mov_b32_e32 v20, 0
	v_mov_b32_e32 v21, v2
	s_mov_b32 s4, s11
	s_branch .LBB0_13
.LBB0_12:                               ;   in Loop: Header=BB0_13 Depth=2
	v_add_nc_u32_e32 v21, s23, v21
	s_add_i32 s4, s4, 1
	s_cmp_ge_i32 s4, s3
	s_cbranch_scc1 .LBB0_42
.LBB0_13:                               ;   Parent Loop BB0_10 Depth=1
                                        ; =>  This Loop Header: Depth=2
                                        ;       Child Loop BB0_16 Depth 3
	s_andn2_b32 vcc_lo, exec_lo, s18
	s_cbranch_vccnz .LBB0_12
; %bb.14:                               ;   in Loop: Header=BB0_13 Depth=2
	s_ashr_i32 s5, s4, 31
	s_mov_b32 s25, 0
	s_lshl_b64 s[28:29], s[4:5], 2
	s_add_u32 s28, s12, s28
	s_addc_u32 s29, s13, s29
	s_load_dword s5, s[28:29], 0x0
	s_waitcnt lgkmcnt(0)
	s_sub_i32 s5, s5, s2
	v_mad_u64_u32 v[4:5], null, s5, s27, v[0:1]
	s_mul_i32 s5, s4, s27
	s_branch .LBB0_16
.LBB0_15:                               ;   in Loop: Header=BB0_16 Depth=3
	s_or_b32 exec_lo, exec_lo, s29
	s_waitcnt vmcnt(0)
	ds_write_b32 v16, v6
	s_waitcnt lgkmcnt(0)
	s_barrier
	buffer_gl0_inv
	ds_read2_b32 v[5:6], v7 offset1:32
	ds_read_b128 v[22:25], v10 offset:4096
	ds_read2_b32 v[30:31], v7 offset0:64 offset1:96
	ds_read_b128 v[26:29], v10 offset:4112
	ds_read2_b32 v[32:33], v7 offset0:128 offset1:160
	s_add_i32 s25, s25, 32
	s_cmp_ge_i32 s25, s27
	s_waitcnt lgkmcnt(3)
	v_fmac_f32_e32 v20, v5, v22
	v_fmac_f32_e32 v20, v6, v23
	ds_read2_b32 v[5:6], v7 offset0:192 offset1:224
	s_waitcnt lgkmcnt(3)
	v_fmac_f32_e32 v20, v30, v24
	v_fmac_f32_e32 v20, v31, v25
	ds_read_b128 v[22:25], v10 offset:4128
	ds_read2_b32 v[30:31], v17 offset1:32
	s_waitcnt lgkmcnt(3)
	v_fmac_f32_e32 v20, v32, v26
	v_fmac_f32_e32 v20, v33, v27
	ds_read2_b32 v[32:33], v17 offset0:64 offset1:96
	s_waitcnt lgkmcnt(3)
	v_fmac_f32_e32 v20, v5, v28
	v_fmac_f32_e32 v20, v6, v29
	ds_read_b128 v[26:29], v10 offset:4144
	ds_read2_b32 v[5:6], v17 offset0:128 offset1:160
	s_waitcnt lgkmcnt(3)
	v_fmac_f32_e32 v20, v30, v22
	v_fmac_f32_e32 v20, v31, v23
	ds_read2_b32 v[30:31], v17 offset0:192 offset1:224
	s_waitcnt lgkmcnt(3)
	v_fmac_f32_e32 v20, v32, v24
	v_fmac_f32_e32 v20, v33, v25
	ds_read2_b32 v[32:33], v18 offset1:32
	ds_read_b128 v[22:25], v10 offset:4160
	s_waitcnt lgkmcnt(3)
	v_fmac_f32_e32 v20, v5, v26
	v_fmac_f32_e32 v20, v6, v27
	ds_read2_b32 v[5:6], v18 offset0:64 offset1:96
	s_waitcnt lgkmcnt(3)
	v_fmac_f32_e32 v20, v30, v28
	v_fmac_f32_e32 v20, v31, v29
	ds_read2_b32 v[30:31], v18 offset0:128 offset1:160
	ds_read_b128 v[26:29], v10 offset:4176
	s_waitcnt lgkmcnt(3)
	v_fmac_f32_e32 v20, v32, v22
	v_fmac_f32_e32 v20, v33, v23
	ds_read2_b32 v[32:33], v18 offset0:192 offset1:224
	s_waitcnt lgkmcnt(3)
	v_fmac_f32_e32 v20, v5, v24
	v_fmac_f32_e32 v20, v6, v25
	ds_read2_b32 v[5:6], v19 offset1:32
	ds_read_b128 v[22:25], v10 offset:4192
	s_waitcnt lgkmcnt(3)
	v_fmac_f32_e32 v20, v30, v26
	v_fmac_f32_e32 v20, v31, v27
	ds_read2_b32 v[30:31], v19 offset0:64 offset1:96
	s_waitcnt lgkmcnt(3)
	v_fmac_f32_e32 v20, v32, v28
	v_fmac_f32_e32 v20, v33, v29
	ds_read2_b32 v[32:33], v19 offset0:128 offset1:160
	ds_read_b128 v[26:29], v10 offset:4208
	s_waitcnt lgkmcnt(3)
	v_fmac_f32_e32 v20, v5, v22
	v_fmac_f32_e32 v20, v6, v23
	ds_read2_b32 v[5:6], v19 offset0:192 offset1:224
	s_waitcnt lgkmcnt(0)
	s_barrier
	buffer_gl0_inv
	v_fmac_f32_e32 v20, v30, v24
	v_fmac_f32_e32 v20, v31, v25
	;; [unrolled: 1-line block ×6, first 2 shown]
	s_cbranch_scc1 .LBB0_12
.LBB0_16:                               ;   Parent Loop BB0_10 Depth=1
                                        ;     Parent Loop BB0_13 Depth=2
                                        ; =>    This Inner Loop Header: Depth=3
	s_and_b32 vcc_lo, exec_lo, s22
	s_mov_b32 s28, -1
                                        ; implicit-def: $vgpr5
	s_cbranch_vccnz .LBB0_25
; %bb.17:                               ;   in Loop: Header=BB0_16 Depth=3
	s_andn2_b32 vcc_lo, exec_lo, s28
	s_cbranch_vccz .LBB0_30
.LBB0_18:                               ;   in Loop: Header=BB0_16 Depth=3
	s_and_b32 vcc_lo, exec_lo, s16
	s_waitcnt vmcnt(0)
	ds_write_b32 v15, v5
	s_cbranch_vccz .LBB0_35
.LBB0_19:                               ;   in Loop: Header=BB0_16 Depth=3
	s_mov_b32 s29, 0
	s_mov_b32 s28, 0
                                        ; implicit-def: $vgpr5
	s_and_saveexec_b32 s30, s1
	s_cbranch_execz .LBB0_23
; %bb.20:                               ;   in Loop: Header=BB0_16 Depth=3
	v_add_nc_u32_e32 v6, s25, v1
	s_mov_b32 s31, exec_lo
                                        ; implicit-def: $vgpr5
	v_cmpx_gt_i32_e64 s27, v6
	s_xor_b32 s31, exec_lo, s31
; %bb.21:                               ;   in Loop: Header=BB0_16 Depth=3
	v_add_nc_u32_e32 v5, s5, v6
	s_mov_b32 s28, exec_lo
	v_mad_u64_u32 v[5:6], null, v5, s26, v[3:4]
; %bb.22:                               ;   in Loop: Header=BB0_16 Depth=3
	s_or_b32 exec_lo, exec_lo, s31
	s_and_b32 s28, s28, exec_lo
.LBB0_23:                               ;   in Loop: Header=BB0_16 Depth=3
	s_or_b32 exec_lo, exec_lo, s30
	s_and_b32 vcc_lo, exec_lo, s29
	s_cbranch_vccnz .LBB0_36
.LBB0_24:                               ;   in Loop: Header=BB0_16 Depth=3
	v_mov_b32_e32 v6, 0
	s_and_saveexec_b32 s29, s28
	s_cbranch_execz .LBB0_15
	s_branch .LBB0_41
.LBB0_25:                               ;   in Loop: Header=BB0_16 Depth=3
	v_mov_b32_e32 v5, 0
	s_and_saveexec_b32 s28, s0
	s_cbranch_execz .LBB0_29
; %bb.26:                               ;   in Loop: Header=BB0_16 Depth=3
	v_add_nc_u32_e32 v5, s25, v0
	v_cmp_gt_i32_e32 vcc_lo, s27, v5
	v_mov_b32_e32 v5, 0
	s_and_saveexec_b32 s29, vcc_lo
	s_cbranch_execz .LBB0_28
; %bb.27:                               ;   in Loop: Header=BB0_16 Depth=3
	v_add_nc_u32_e32 v5, s25, v4
	v_ashrrev_i32_e32 v22, 31, v5
	v_mul_lo_u32 v23, s9, v5
	v_mad_u64_u32 v[5:6], null, s8, v5, 0
	v_mul_lo_u32 v22, s8, v22
	v_add3_u32 v6, v6, v22, v23
	v_lshlrev_b64 v[5:6], 2, v[5:6]
	v_add_co_u32 v5, vcc_lo, v8, v5
	v_add_co_ci_u32_e64 v6, null, v9, v6, vcc_lo
	global_load_dword v5, v[5:6], off
.LBB0_28:                               ;   in Loop: Header=BB0_16 Depth=3
	s_or_b32 exec_lo, exec_lo, s29
.LBB0_29:                               ;   in Loop: Header=BB0_16 Depth=3
	s_or_b32 exec_lo, exec_lo, s28
	s_cbranch_execnz .LBB0_18
.LBB0_30:                               ;   in Loop: Header=BB0_16 Depth=3
	s_waitcnt vmcnt(0)
	v_mov_b32_e32 v5, 0
	s_and_saveexec_b32 s28, s0
	s_cbranch_execz .LBB0_34
; %bb.31:                               ;   in Loop: Header=BB0_16 Depth=3
	v_add_nc_u32_e32 v5, s25, v0
	v_cmp_gt_i32_e32 vcc_lo, s27, v5
	v_mov_b32_e32 v5, 0
	s_and_saveexec_b32 s29, vcc_lo
	s_cbranch_execz .LBB0_33
; %bb.32:                               ;   in Loop: Header=BB0_16 Depth=3
	v_add_nc_u32_e32 v5, s25, v4
	v_ashrrev_i32_e32 v6, 31, v5
	v_lshlrev_b64 v[5:6], 2, v[5:6]
	v_add_co_u32 v5, vcc_lo, v11, v5
	v_add_co_ci_u32_e64 v6, null, v12, v6, vcc_lo
	global_load_dword v5, v[5:6], off
.LBB0_33:                               ;   in Loop: Header=BB0_16 Depth=3
	s_or_b32 exec_lo, exec_lo, s29
.LBB0_34:                               ;   in Loop: Header=BB0_16 Depth=3
	s_or_b32 exec_lo, exec_lo, s28
	s_and_b32 vcc_lo, exec_lo, s16
	s_waitcnt vmcnt(0)
	ds_write_b32 v15, v5
	s_cbranch_vccnz .LBB0_19
.LBB0_35:                               ;   in Loop: Header=BB0_16 Depth=3
	s_mov_b32 s28, 0
                                        ; implicit-def: $vgpr5
	s_cbranch_execz .LBB0_24
.LBB0_36:                               ;   in Loop: Header=BB0_16 Depth=3
                                        ; implicit-def: $vgpr5
	s_and_saveexec_b32 s29, s1
	s_cbranch_execz .LBB0_40
; %bb.37:                               ;   in Loop: Header=BB0_16 Depth=3
	v_add_nc_u32_e32 v5, s25, v1
	s_mov_b32 s30, s28
	v_cmp_gt_i32_e32 vcc_lo, s27, v5
                                        ; implicit-def: $vgpr5
	s_and_saveexec_b32 s31, vcc_lo
; %bb.38:                               ;   in Loop: Header=BB0_16 Depth=3
	v_add_nc_u32_e32 v5, s25, v21
	s_or_b32 s30, s28, exec_lo
; %bb.39:                               ;   in Loop: Header=BB0_16 Depth=3
	s_or_b32 exec_lo, exec_lo, s31
	s_andn2_b32 s28, s28, exec_lo
	s_and_b32 s30, s30, exec_lo
	s_or_b32 s28, s28, s30
.LBB0_40:                               ;   in Loop: Header=BB0_16 Depth=3
	s_or_b32 exec_lo, exec_lo, s29
	v_mov_b32_e32 v6, 0
	s_and_saveexec_b32 s29, s28
	s_cbranch_execz .LBB0_15
.LBB0_41:                               ;   in Loop: Header=BB0_16 Depth=3
	v_ashrrev_i32_e32 v6, 31, v5
	v_lshlrev_b64 v[5:6], 2, v[5:6]
	v_add_co_u32 v5, vcc_lo, s14, v5
	v_add_co_ci_u32_e64 v6, null, s15, v6, vcc_lo
	global_load_dword v6, v[5:6], off
	s_branch .LBB0_15
.LBB0_42:                               ;   in Loop: Header=BB0_10 Depth=1
	v_cmp_gt_i32_e32 vcc_lo, s26, v3
	s_and_b32 s4, s20, vcc_lo
	s_and_saveexec_b32 s1, s4
	s_cbranch_execz .LBB0_9
; %bb.43:                               ;   in Loop: Header=BB0_10 Depth=1
	v_add_nc_u32_e32 v3, s6, v3
	v_mul_f32_e32 v5, s24, v20
	s_and_b32 vcc_lo, exec_lo, s19
	v_ashrrev_i32_e32 v4, 31, v3
	s_cbranch_vccz .LBB0_45
; %bb.44:                               ;   in Loop: Header=BB0_10 Depth=1
	v_lshlrev_b64 v[20:21], 2, v[3:4]
	v_add_co_u32 v20, vcc_lo, v13, v20
	v_add_co_ci_u32_e64 v21, null, v14, v21, vcc_lo
	global_load_dword v6, v[20:21], off
	s_waitcnt vmcnt(0)
	v_fma_f32 v6, s10, v6, v5
	global_store_dword v[20:21], v6, off
	s_cbranch_execnz .LBB0_9
	s_branch .LBB0_46
.LBB0_45:                               ;   in Loop: Header=BB0_10 Depth=1
.LBB0_46:                               ;   in Loop: Header=BB0_10 Depth=1
	v_lshlrev_b64 v[3:4], 2, v[3:4]
	v_add_co_u32 v3, vcc_lo, v13, v3
	v_add_co_ci_u32_e64 v4, null, v14, v4, vcc_lo
	global_store_dword v[3:4], v5, off
	s_branch .LBB0_9
.LBB0_47:
	s_endpgm
	.section	.rodata,"a",@progbits
	.p2align	6, 0x0
	.amdhsa_kernel _ZN9rocsparseL31gebsrmm_general_blockdim_kernelILi32ELi32EfEEv20rocsparse_direction_20rocsparse_operation_iiNS_24const_host_device_scalarIT1_EEPKiS7_PKS4_iiS9_lS5_PS4_l21rocsparse_index_base_b
		.amdhsa_group_segment_fixed_size 8192
		.amdhsa_private_segment_fixed_size 0
		.amdhsa_kernarg_size 104
		.amdhsa_user_sgpr_count 6
		.amdhsa_user_sgpr_private_segment_buffer 1
		.amdhsa_user_sgpr_dispatch_ptr 0
		.amdhsa_user_sgpr_queue_ptr 0
		.amdhsa_user_sgpr_kernarg_segment_ptr 1
		.amdhsa_user_sgpr_dispatch_id 0
		.amdhsa_user_sgpr_flat_scratch_init 0
		.amdhsa_user_sgpr_private_segment_size 0
		.amdhsa_wavefront_size32 1
		.amdhsa_uses_dynamic_stack 0
		.amdhsa_system_sgpr_private_segment_wavefront_offset 0
		.amdhsa_system_sgpr_workgroup_id_x 1
		.amdhsa_system_sgpr_workgroup_id_y 1
		.amdhsa_system_sgpr_workgroup_id_z 0
		.amdhsa_system_sgpr_workgroup_info 0
		.amdhsa_system_vgpr_workitem_id 1
		.amdhsa_next_free_vgpr 34
		.amdhsa_next_free_sgpr 32
		.amdhsa_reserve_vcc 1
		.amdhsa_reserve_flat_scratch 0
		.amdhsa_float_round_mode_32 0
		.amdhsa_float_round_mode_16_64 0
		.amdhsa_float_denorm_mode_32 3
		.amdhsa_float_denorm_mode_16_64 3
		.amdhsa_dx10_clamp 1
		.amdhsa_ieee_mode 1
		.amdhsa_fp16_overflow 0
		.amdhsa_workgroup_processor_mode 1
		.amdhsa_memory_ordered 1
		.amdhsa_forward_progress 1
		.amdhsa_shared_vgpr_count 0
		.amdhsa_exception_fp_ieee_invalid_op 0
		.amdhsa_exception_fp_denorm_src 0
		.amdhsa_exception_fp_ieee_div_zero 0
		.amdhsa_exception_fp_ieee_overflow 0
		.amdhsa_exception_fp_ieee_underflow 0
		.amdhsa_exception_fp_ieee_inexact 0
		.amdhsa_exception_int_div_zero 0
	.end_amdhsa_kernel
	.section	.text._ZN9rocsparseL31gebsrmm_general_blockdim_kernelILi32ELi32EfEEv20rocsparse_direction_20rocsparse_operation_iiNS_24const_host_device_scalarIT1_EEPKiS7_PKS4_iiS9_lS5_PS4_l21rocsparse_index_base_b,"axG",@progbits,_ZN9rocsparseL31gebsrmm_general_blockdim_kernelILi32ELi32EfEEv20rocsparse_direction_20rocsparse_operation_iiNS_24const_host_device_scalarIT1_EEPKiS7_PKS4_iiS9_lS5_PS4_l21rocsparse_index_base_b,comdat
.Lfunc_end0:
	.size	_ZN9rocsparseL31gebsrmm_general_blockdim_kernelILi32ELi32EfEEv20rocsparse_direction_20rocsparse_operation_iiNS_24const_host_device_scalarIT1_EEPKiS7_PKS4_iiS9_lS5_PS4_l21rocsparse_index_base_b, .Lfunc_end0-_ZN9rocsparseL31gebsrmm_general_blockdim_kernelILi32ELi32EfEEv20rocsparse_direction_20rocsparse_operation_iiNS_24const_host_device_scalarIT1_EEPKiS7_PKS4_iiS9_lS5_PS4_l21rocsparse_index_base_b
                                        ; -- End function
	.set _ZN9rocsparseL31gebsrmm_general_blockdim_kernelILi32ELi32EfEEv20rocsparse_direction_20rocsparse_operation_iiNS_24const_host_device_scalarIT1_EEPKiS7_PKS4_iiS9_lS5_PS4_l21rocsparse_index_base_b.num_vgpr, 34
	.set _ZN9rocsparseL31gebsrmm_general_blockdim_kernelILi32ELi32EfEEv20rocsparse_direction_20rocsparse_operation_iiNS_24const_host_device_scalarIT1_EEPKiS7_PKS4_iiS9_lS5_PS4_l21rocsparse_index_base_b.num_agpr, 0
	.set _ZN9rocsparseL31gebsrmm_general_blockdim_kernelILi32ELi32EfEEv20rocsparse_direction_20rocsparse_operation_iiNS_24const_host_device_scalarIT1_EEPKiS7_PKS4_iiS9_lS5_PS4_l21rocsparse_index_base_b.numbered_sgpr, 32
	.set _ZN9rocsparseL31gebsrmm_general_blockdim_kernelILi32ELi32EfEEv20rocsparse_direction_20rocsparse_operation_iiNS_24const_host_device_scalarIT1_EEPKiS7_PKS4_iiS9_lS5_PS4_l21rocsparse_index_base_b.num_named_barrier, 0
	.set _ZN9rocsparseL31gebsrmm_general_blockdim_kernelILi32ELi32EfEEv20rocsparse_direction_20rocsparse_operation_iiNS_24const_host_device_scalarIT1_EEPKiS7_PKS4_iiS9_lS5_PS4_l21rocsparse_index_base_b.private_seg_size, 0
	.set _ZN9rocsparseL31gebsrmm_general_blockdim_kernelILi32ELi32EfEEv20rocsparse_direction_20rocsparse_operation_iiNS_24const_host_device_scalarIT1_EEPKiS7_PKS4_iiS9_lS5_PS4_l21rocsparse_index_base_b.uses_vcc, 1
	.set _ZN9rocsparseL31gebsrmm_general_blockdim_kernelILi32ELi32EfEEv20rocsparse_direction_20rocsparse_operation_iiNS_24const_host_device_scalarIT1_EEPKiS7_PKS4_iiS9_lS5_PS4_l21rocsparse_index_base_b.uses_flat_scratch, 0
	.set _ZN9rocsparseL31gebsrmm_general_blockdim_kernelILi32ELi32EfEEv20rocsparse_direction_20rocsparse_operation_iiNS_24const_host_device_scalarIT1_EEPKiS7_PKS4_iiS9_lS5_PS4_l21rocsparse_index_base_b.has_dyn_sized_stack, 0
	.set _ZN9rocsparseL31gebsrmm_general_blockdim_kernelILi32ELi32EfEEv20rocsparse_direction_20rocsparse_operation_iiNS_24const_host_device_scalarIT1_EEPKiS7_PKS4_iiS9_lS5_PS4_l21rocsparse_index_base_b.has_recursion, 0
	.set _ZN9rocsparseL31gebsrmm_general_blockdim_kernelILi32ELi32EfEEv20rocsparse_direction_20rocsparse_operation_iiNS_24const_host_device_scalarIT1_EEPKiS7_PKS4_iiS9_lS5_PS4_l21rocsparse_index_base_b.has_indirect_call, 0
	.section	.AMDGPU.csdata,"",@progbits
; Kernel info:
; codeLenInByte = 1700
; TotalNumSgprs: 34
; NumVgprs: 34
; ScratchSize: 0
; MemoryBound: 0
; FloatMode: 240
; IeeeMode: 1
; LDSByteSize: 8192 bytes/workgroup (compile time only)
; SGPRBlocks: 0
; VGPRBlocks: 4
; NumSGPRsForWavesPerEU: 34
; NumVGPRsForWavesPerEU: 34
; Occupancy: 16
; WaveLimiterHint : 1
; COMPUTE_PGM_RSRC2:SCRATCH_EN: 0
; COMPUTE_PGM_RSRC2:USER_SGPR: 6
; COMPUTE_PGM_RSRC2:TRAP_HANDLER: 0
; COMPUTE_PGM_RSRC2:TGID_X_EN: 1
; COMPUTE_PGM_RSRC2:TGID_Y_EN: 1
; COMPUTE_PGM_RSRC2:TGID_Z_EN: 0
; COMPUTE_PGM_RSRC2:TIDIG_COMP_CNT: 1
	.section	.text._ZN9rocsparseL31gebsrmm_general_blockdim_kernelILi32ELi32EdEEv20rocsparse_direction_20rocsparse_operation_iiNS_24const_host_device_scalarIT1_EEPKiS7_PKS4_iiS9_lS5_PS4_l21rocsparse_index_base_b,"axG",@progbits,_ZN9rocsparseL31gebsrmm_general_blockdim_kernelILi32ELi32EdEEv20rocsparse_direction_20rocsparse_operation_iiNS_24const_host_device_scalarIT1_EEPKiS7_PKS4_iiS9_lS5_PS4_l21rocsparse_index_base_b,comdat
	.globl	_ZN9rocsparseL31gebsrmm_general_blockdim_kernelILi32ELi32EdEEv20rocsparse_direction_20rocsparse_operation_iiNS_24const_host_device_scalarIT1_EEPKiS7_PKS4_iiS9_lS5_PS4_l21rocsparse_index_base_b ; -- Begin function _ZN9rocsparseL31gebsrmm_general_blockdim_kernelILi32ELi32EdEEv20rocsparse_direction_20rocsparse_operation_iiNS_24const_host_device_scalarIT1_EEPKiS7_PKS4_iiS9_lS5_PS4_l21rocsparse_index_base_b
	.p2align	8
	.type	_ZN9rocsparseL31gebsrmm_general_blockdim_kernelILi32ELi32EdEEv20rocsparse_direction_20rocsparse_operation_iiNS_24const_host_device_scalarIT1_EEPKiS7_PKS4_iiS9_lS5_PS4_l21rocsparse_index_base_b,@function
_ZN9rocsparseL31gebsrmm_general_blockdim_kernelILi32ELi32EdEEv20rocsparse_direction_20rocsparse_operation_iiNS_24const_host_device_scalarIT1_EEPKiS7_PKS4_iiS9_lS5_PS4_l21rocsparse_index_base_b: ; @_ZN9rocsparseL31gebsrmm_general_blockdim_kernelILi32ELi32EdEEv20rocsparse_direction_20rocsparse_operation_iiNS_24const_host_device_scalarIT1_EEPKiS7_PKS4_iiS9_lS5_PS4_l21rocsparse_index_base_b
; %bb.0:
	s_clause 0x2
	s_load_dwordx2 s[24:25], s[4:5], 0x60
	s_load_dwordx2 s[0:1], s[4:5], 0x10
	s_load_dwordx4 s[8:11], s[4:5], 0x40
	s_waitcnt lgkmcnt(0)
	s_bitcmp1_b32 s25, 0
	v_mov_b32_e32 v3, s1
	v_mov_b32_e32 v2, s0
	s_cselect_b32 s2, -1, 0
	s_and_b32 vcc_lo, exec_lo, s2
	s_xor_b32 s2, s2, -1
	s_cbranch_vccnz .LBB1_2
; %bb.1:
	v_mov_b32_e32 v3, s1
	v_mov_b32_e32 v2, s0
	flat_load_dwordx2 v[2:3], v[2:3]
.LBB1_2:
	v_mov_b32_e32 v4, s10
	v_mov_b32_e32 v5, s11
	s_andn2_b32 vcc_lo, exec_lo, s2
	s_cbranch_vccnz .LBB1_4
; %bb.3:
	v_mov_b32_e32 v4, s10
	v_mov_b32_e32 v5, s11
	flat_load_dwordx2 v[4:5], v[4:5]
.LBB1_4:
	s_waitcnt vmcnt(0) lgkmcnt(0)
	v_cmp_neq_f64_e32 vcc_lo, 0, v[2:3]
	v_cmp_neq_f64_e64 s0, 1.0, v[4:5]
	s_or_b32 s0, vcc_lo, s0
	s_and_saveexec_b32 s1, s0
	s_cbranch_execz .LBB1_47
; %bb.5:
	s_load_dwordx4 s[16:19], s[4:5], 0x0
	s_mov_b32 s3, 0
	s_waitcnt lgkmcnt(0)
	s_cmp_lt_i32 s6, s18
	s_cselect_b32 s2, -1, 0
	s_cmp_ge_i32 s6, s18
	s_mov_b32 s18, 0
	s_cbranch_scc1 .LBB1_7
; %bb.6:
	s_load_dwordx2 s[10:11], s[4:5], 0x18
	s_mov_b32 s0, s7
	s_ashr_i32 s7, s6, 31
	s_lshl_b64 s[12:13], s[6:7], 2
	s_mov_b32 s7, s0
	s_waitcnt lgkmcnt(0)
	s_add_u32 s0, s10, s12
	s_addc_u32 s1, s11, s13
	s_load_dwordx2 s[0:1], s[0:1], 0x0
	s_waitcnt lgkmcnt(0)
	s_sub_i32 s18, s0, s24
	s_sub_i32 s3, s1, s24
.LBB1_7:
	s_load_dwordx2 s[10:11], s[4:5], 0x30
	s_waitcnt lgkmcnt(0)
	s_cmp_lt_i32 s10, 1
	s_cbranch_scc1 .LBB1_47
; %bb.8:
	s_clause 0x2
	s_load_dwordx4 s[20:23], s[4:5], 0x50
	s_load_dwordx4 s[12:15], s[4:5], 0x20
	s_load_dwordx2 s[4:5], s[4:5], 0x38
	v_lshl_add_u32 v6, s7, 5, v1
	v_cmp_neq_f64_e64 s1, 0, v[4:5]
	v_lshlrev_b32_e32 v15, 3, v0
	s_cmp_lt_i32 s18, s3
	s_mul_i32 s6, s10, s6
	v_ashrrev_i32_e32 v7, 31, v6
	v_mul_lo_u32 v14, s9, v6
	v_mad_u64_u32 v[8:9], null, s8, v6, 0
	v_cmp_gt_i32_e64 s0, s19, v6
	v_mul_lo_u32 v16, s8, v7
	v_lshlrev_b64 v[10:11], 3, v[6:7]
	v_or_b32_e32 v23, 0x2000, v15
	s_cselect_b32 s25, -1, 0
	s_cmp_gt_i32 s11, 0
	v_add_nc_u32_e32 v25, 0x800, v15
	s_cselect_b32 s26, -1, 0
	s_waitcnt lgkmcnt(0)
	v_mul_lo_u32 v7, s22, v7
	v_mul_lo_u32 v18, s23, v6
	v_mad_u64_u32 v[12:13], null, s22, v6, 0
	v_add3_u32 v9, v9, v16, v14
	v_add_co_u32 v16, vcc_lo, s4, v10
	v_add_co_ci_u32_e64 v17, null, s5, v11, vcc_lo
	v_mad_u64_u32 v[10:11], null, s18, s10, v[0:1]
	v_add3_u32 v13, v13, v7, v18
	v_lshlrev_b64 v[6:7], 3, v[8:9]
	v_lshlrev_b32_e32 v18, 8, v1
	s_cmpk_lg_i32 s17, 0x6f
	v_add_nc_u32_e32 v26, 0x1000, v15
	v_lshlrev_b64 v[8:9], 3, v[12:13]
	v_add_nc_u32_e32 v27, 0x1800, v15
	v_add_co_u32 v19, vcc_lo, s4, v6
	v_add_co_ci_u32_e64 v20, null, s5, v7, vcc_lo
	v_mad_u64_u32 v[6:7], null, s11, v10, v[1:2]
	v_add_co_u32 v21, vcc_lo, s20, v8
	v_add_co_ci_u32_e64 v22, null, s21, v9, vcc_lo
	v_add_nc_u32_e32 v23, v23, v18
	v_add_nc_u32_e32 v24, v15, v18
	s_cselect_b32 s17, -1, 0
	s_cmp_lg_u32 s16, 0
	s_mov_b32 s7, 0
	s_cselect_b32 s16, -1, 0
	s_and_b32 s19, s2, s0
	s_lshl_b32 s20, s11, 5
	s_mul_i32 s21, s11, s10
	s_branch .LBB1_10
.LBB1_9:                                ;   in Loop: Header=BB1_10 Depth=1
	s_or_b32 exec_lo, exec_lo, s2
	v_add_nc_u32_e32 v6, s20, v6
	s_add_i32 s7, s7, 32
	s_cmp_lt_i32 s7, s10
	s_cbranch_scc0 .LBB1_47
.LBB1_10:                               ; =>This Loop Header: Depth=1
                                        ;     Child Loop BB1_13 Depth 2
                                        ;       Child Loop BB1_16 Depth 3
	v_add_nc_u32_e32 v7, s7, v0
	v_mov_b32_e32 v10, 0
	v_mov_b32_e32 v11, 0
	s_andn2_b32 vcc_lo, exec_lo, s25
	v_cmp_gt_i32_e64 s2, s10, v7
	s_cbranch_vccnz .LBB1_42
; %bb.11:                               ;   in Loop: Header=BB1_10 Depth=1
	v_mov_b32_e32 v10, 0
	v_mov_b32_e32 v11, 0
	;; [unrolled: 1-line block ×3, first 2 shown]
	s_mov_b32 s4, s18
	s_branch .LBB1_13
.LBB1_12:                               ;   in Loop: Header=BB1_13 Depth=2
	v_add_nc_u32_e32 v28, s21, v28
	s_add_i32 s4, s4, 1
	s_cmp_ge_i32 s4, s3
	s_cbranch_scc1 .LBB1_42
.LBB1_13:                               ;   Parent Loop BB1_10 Depth=1
                                        ; =>  This Loop Header: Depth=2
                                        ;       Child Loop BB1_16 Depth 3
	s_andn2_b32 vcc_lo, exec_lo, s26
	s_cbranch_vccnz .LBB1_12
; %bb.14:                               ;   in Loop: Header=BB1_13 Depth=2
	s_ashr_i32 s5, s4, 31
	s_lshl_b64 s[22:23], s[4:5], 2
	s_add_u32 s22, s12, s22
	s_addc_u32 s23, s13, s23
	s_load_dword s5, s[22:23], 0x0
	s_mov_b32 s22, 0
	s_waitcnt lgkmcnt(0)
	s_sub_i32 s5, s5, s24
	v_mad_u64_u32 v[8:9], null, s5, s11, v[0:1]
	s_mul_i32 s5, s4, s11
	s_branch .LBB1_16
.LBB1_15:                               ;   in Loop: Header=BB1_16 Depth=3
	s_or_b32 exec_lo, exec_lo, s27
	s_waitcnt vmcnt(0)
	ds_write_b64 v24, v[13:14]
	s_waitcnt lgkmcnt(0)
	s_barrier
	buffer_gl0_inv
	ds_read2_b64 v[29:32], v15 offset1:32
	ds_read_b128 v[33:36], v18 offset:8192
	ds_read_b128 v[37:40], v18 offset:8208
	s_add_i32 s22, s22, 32
	s_cmp_ge_i32 s22, s11
	s_waitcnt lgkmcnt(1)
	v_fma_f64 v[9:10], v[29:30], v[33:34], v[10:11]
	v_fma_f64 v[13:14], v[31:32], v[35:36], v[9:10]
	ds_read2_b64 v[9:12], v15 offset0:64 offset1:96
	s_waitcnt lgkmcnt(0)
	v_fma_f64 v[9:10], v[9:10], v[37:38], v[13:14]
	v_fma_f64 v[13:14], v[11:12], v[39:40], v[9:10]
	ds_read2_b64 v[9:12], v15 offset0:128 offset1:160
	ds_read_b128 v[29:32], v18 offset:8224
	ds_read_b128 v[33:36], v18 offset:8240
	s_waitcnt lgkmcnt(1)
	v_fma_f64 v[9:10], v[9:10], v[29:30], v[13:14]
	v_fma_f64 v[13:14], v[11:12], v[31:32], v[9:10]
	ds_read2_b64 v[9:12], v15 offset0:192 offset1:224
	s_waitcnt lgkmcnt(0)
	v_fma_f64 v[9:10], v[9:10], v[33:34], v[13:14]
	v_fma_f64 v[13:14], v[11:12], v[35:36], v[9:10]
	ds_read2_b64 v[9:12], v25 offset1:32
	ds_read_b128 v[29:32], v18 offset:8256
	ds_read_b128 v[33:36], v18 offset:8272
	s_waitcnt lgkmcnt(1)
	v_fma_f64 v[9:10], v[9:10], v[29:30], v[13:14]
	v_fma_f64 v[13:14], v[11:12], v[31:32], v[9:10]
	ds_read2_b64 v[9:12], v25 offset0:64 offset1:96
	s_waitcnt lgkmcnt(0)
	v_fma_f64 v[9:10], v[9:10], v[33:34], v[13:14]
	v_fma_f64 v[13:14], v[11:12], v[35:36], v[9:10]
	ds_read2_b64 v[9:12], v25 offset0:128 offset1:160
	ds_read_b128 v[29:32], v18 offset:8288
	ds_read_b128 v[33:36], v18 offset:8304
	s_waitcnt lgkmcnt(1)
	v_fma_f64 v[9:10], v[9:10], v[29:30], v[13:14]
	v_fma_f64 v[13:14], v[11:12], v[31:32], v[9:10]
	ds_read2_b64 v[9:12], v25 offset0:192 offset1:224
	s_waitcnt lgkmcnt(0)
	v_fma_f64 v[9:10], v[9:10], v[33:34], v[13:14]
	v_fma_f64 v[13:14], v[11:12], v[35:36], v[9:10]
	ds_read2_b64 v[9:12], v26 offset1:32
	ds_read_b128 v[29:32], v18 offset:8320
	ds_read_b128 v[33:36], v18 offset:8336
	;; [unrolled: 20-line block ×3, first 2 shown]
	s_waitcnt lgkmcnt(1)
	v_fma_f64 v[9:10], v[9:10], v[29:30], v[13:14]
	v_fma_f64 v[13:14], v[11:12], v[31:32], v[9:10]
	ds_read2_b64 v[9:12], v27 offset0:64 offset1:96
	s_waitcnt lgkmcnt(0)
	v_fma_f64 v[9:10], v[9:10], v[33:34], v[13:14]
	v_fma_f64 v[13:14], v[11:12], v[35:36], v[9:10]
	ds_read2_b64 v[9:12], v27 offset0:128 offset1:160
	ds_read_b128 v[29:32], v18 offset:8416
	ds_read_b128 v[33:36], v18 offset:8432
	s_waitcnt lgkmcnt(1)
	v_fma_f64 v[9:10], v[9:10], v[29:30], v[13:14]
	v_fma_f64 v[13:14], v[11:12], v[31:32], v[9:10]
	ds_read2_b64 v[9:12], v27 offset0:192 offset1:224
	s_waitcnt lgkmcnt(0)
	s_barrier
	buffer_gl0_inv
	v_fma_f64 v[9:10], v[9:10], v[33:34], v[13:14]
	v_fma_f64 v[10:11], v[11:12], v[35:36], v[9:10]
	s_cbranch_scc1 .LBB1_12
.LBB1_16:                               ;   Parent Loop BB1_10 Depth=1
                                        ;     Parent Loop BB1_13 Depth=2
                                        ; =>    This Inner Loop Header: Depth=3
	s_and_b32 vcc_lo, exec_lo, s17
	s_mov_b32 s23, -1
                                        ; implicit-def: $vgpr12_vgpr13
	s_cbranch_vccnz .LBB1_25
; %bb.17:                               ;   in Loop: Header=BB1_16 Depth=3
	s_andn2_b32 vcc_lo, exec_lo, s23
	s_cbranch_vccz .LBB1_30
.LBB1_18:                               ;   in Loop: Header=BB1_16 Depth=3
	s_and_b32 vcc_lo, exec_lo, s16
	s_waitcnt vmcnt(0)
	ds_write_b64 v23, v[12:13]
	s_cbranch_vccz .LBB1_35
.LBB1_19:                               ;   in Loop: Header=BB1_16 Depth=3
	s_mov_b32 s27, 0
	s_mov_b32 s23, 0
                                        ; implicit-def: $vgpr12
	s_and_saveexec_b32 s28, s2
	s_cbranch_execz .LBB1_23
; %bb.20:                               ;   in Loop: Header=BB1_16 Depth=3
	v_add_nc_u32_e32 v9, s22, v1
	s_mov_b32 s29, exec_lo
                                        ; implicit-def: $vgpr12
	v_cmpx_gt_i32_e64 s11, v9
	s_xor_b32 s29, exec_lo, s29
; %bb.21:                               ;   in Loop: Header=BB1_16 Depth=3
	v_add_nc_u32_e32 v9, s5, v9
	s_mov_b32 s23, exec_lo
	v_mad_u64_u32 v[12:13], null, v9, s10, v[7:8]
; %bb.22:                               ;   in Loop: Header=BB1_16 Depth=3
	s_or_b32 exec_lo, exec_lo, s29
	s_and_b32 s23, s23, exec_lo
.LBB1_23:                               ;   in Loop: Header=BB1_16 Depth=3
	s_or_b32 exec_lo, exec_lo, s28
	s_and_b32 vcc_lo, exec_lo, s27
	s_cbranch_vccnz .LBB1_36
.LBB1_24:                               ;   in Loop: Header=BB1_16 Depth=3
	v_mov_b32_e32 v13, 0
	v_mov_b32_e32 v14, 0
	s_and_saveexec_b32 s27, s23
	s_cbranch_execz .LBB1_15
	s_branch .LBB1_41
.LBB1_25:                               ;   in Loop: Header=BB1_16 Depth=3
	v_mov_b32_e32 v12, 0
	v_mov_b32_e32 v13, 0
	s_and_saveexec_b32 s23, s0
	s_cbranch_execz .LBB1_29
; %bb.26:                               ;   in Loop: Header=BB1_16 Depth=3
	v_mov_b32_e32 v12, 0
	v_add_nc_u32_e32 v9, s22, v0
	v_mov_b32_e32 v13, 0
	s_mov_b32 s27, exec_lo
	v_cmpx_gt_i32_e64 s11, v9
	s_cbranch_execz .LBB1_28
; %bb.27:                               ;   in Loop: Header=BB1_16 Depth=3
	v_add_nc_u32_e32 v9, s22, v8
	v_ashrrev_i32_e32 v14, 31, v9
	v_mul_lo_u32 v29, s9, v9
	v_mad_u64_u32 v[12:13], null, s8, v9, 0
	v_mul_lo_u32 v9, s8, v14
	v_add3_u32 v13, v13, v9, v29
	v_lshlrev_b64 v[12:13], 3, v[12:13]
	v_add_co_u32 v12, vcc_lo, v16, v12
	v_add_co_ci_u32_e64 v13, null, v17, v13, vcc_lo
	global_load_dwordx2 v[12:13], v[12:13], off
.LBB1_28:                               ;   in Loop: Header=BB1_16 Depth=3
	s_or_b32 exec_lo, exec_lo, s27
.LBB1_29:                               ;   in Loop: Header=BB1_16 Depth=3
	s_or_b32 exec_lo, exec_lo, s23
	s_cbranch_execnz .LBB1_18
.LBB1_30:                               ;   in Loop: Header=BB1_16 Depth=3
	s_waitcnt vmcnt(0)
	v_mov_b32_e32 v12, 0
	v_mov_b32_e32 v13, 0
	s_and_saveexec_b32 s23, s0
	s_cbranch_execz .LBB1_34
; %bb.31:                               ;   in Loop: Header=BB1_16 Depth=3
	v_mov_b32_e32 v12, 0
	v_add_nc_u32_e32 v9, s22, v0
	v_mov_b32_e32 v13, 0
	s_mov_b32 s27, exec_lo
	v_cmpx_gt_i32_e64 s11, v9
	s_cbranch_execz .LBB1_33
; %bb.32:                               ;   in Loop: Header=BB1_16 Depth=3
	v_add_nc_u32_e32 v12, s22, v8
	v_ashrrev_i32_e32 v13, 31, v12
	v_lshlrev_b64 v[12:13], 3, v[12:13]
	v_add_co_u32 v12, vcc_lo, v19, v12
	v_add_co_ci_u32_e64 v13, null, v20, v13, vcc_lo
	global_load_dwordx2 v[12:13], v[12:13], off
.LBB1_33:                               ;   in Loop: Header=BB1_16 Depth=3
	s_or_b32 exec_lo, exec_lo, s27
.LBB1_34:                               ;   in Loop: Header=BB1_16 Depth=3
	s_or_b32 exec_lo, exec_lo, s23
	s_and_b32 vcc_lo, exec_lo, s16
	s_waitcnt vmcnt(0)
	ds_write_b64 v23, v[12:13]
	s_cbranch_vccnz .LBB1_19
.LBB1_35:                               ;   in Loop: Header=BB1_16 Depth=3
	s_mov_b32 s23, 0
                                        ; implicit-def: $vgpr12
	s_cbranch_execz .LBB1_24
.LBB1_36:                               ;   in Loop: Header=BB1_16 Depth=3
                                        ; implicit-def: $vgpr12
	s_and_saveexec_b32 s27, s2
	s_cbranch_execz .LBB1_40
; %bb.37:                               ;   in Loop: Header=BB1_16 Depth=3
	v_add_nc_u32_e32 v9, s22, v1
	s_mov_b32 s28, s23
	s_mov_b32 s29, exec_lo
                                        ; implicit-def: $vgpr12
	v_cmpx_gt_i32_e64 s11, v9
; %bb.38:                               ;   in Loop: Header=BB1_16 Depth=3
	v_add_nc_u32_e32 v12, s22, v28
	s_or_b32 s28, s23, exec_lo
; %bb.39:                               ;   in Loop: Header=BB1_16 Depth=3
	s_or_b32 exec_lo, exec_lo, s29
	s_andn2_b32 s23, s23, exec_lo
	s_and_b32 s28, s28, exec_lo
	s_or_b32 s23, s23, s28
.LBB1_40:                               ;   in Loop: Header=BB1_16 Depth=3
	s_or_b32 exec_lo, exec_lo, s27
	v_mov_b32_e32 v13, 0
	v_mov_b32_e32 v14, 0
	s_and_saveexec_b32 s27, s23
	s_cbranch_execz .LBB1_15
.LBB1_41:                               ;   in Loop: Header=BB1_16 Depth=3
	v_ashrrev_i32_e32 v13, 31, v12
	v_lshlrev_b64 v[12:13], 3, v[12:13]
	v_add_co_u32 v12, vcc_lo, s14, v12
	v_add_co_ci_u32_e64 v13, null, s15, v13, vcc_lo
	global_load_dwordx2 v[13:14], v[12:13], off
	s_branch .LBB1_15
.LBB1_42:                               ;   in Loop: Header=BB1_10 Depth=1
	v_cmp_gt_i32_e32 vcc_lo, s10, v7
	s_and_b32 s4, s19, vcc_lo
	s_and_saveexec_b32 s2, s4
	s_cbranch_execz .LBB1_9
; %bb.43:                               ;   in Loop: Header=BB1_10 Depth=1
	v_add_nc_u32_e32 v7, s6, v7
	s_and_saveexec_b32 s4, s1
	s_xor_b32 s4, exec_lo, s4
	s_cbranch_execz .LBB1_45
; %bb.44:                               ;   in Loop: Header=BB1_10 Depth=1
	v_ashrrev_i32_e32 v8, 31, v7
	v_mul_f64 v[9:10], v[2:3], v[10:11]
	v_lshlrev_b64 v[7:8], 3, v[7:8]
	v_add_co_u32 v7, vcc_lo, v21, v7
	v_add_co_ci_u32_e64 v8, null, v22, v8, vcc_lo
	global_load_dwordx2 v[12:13], v[7:8], off
	s_waitcnt vmcnt(0)
	v_fma_f64 v[9:10], v[4:5], v[12:13], v[9:10]
	global_store_dwordx2 v[7:8], v[9:10], off
                                        ; implicit-def: $vgpr10_vgpr11
                                        ; implicit-def: $vgpr7
.LBB1_45:                               ;   in Loop: Header=BB1_10 Depth=1
	s_andn2_saveexec_b32 s4, s4
	s_cbranch_execz .LBB1_9
; %bb.46:                               ;   in Loop: Header=BB1_10 Depth=1
	v_mul_f64 v[9:10], v[2:3], v[10:11]
	v_ashrrev_i32_e32 v8, 31, v7
	v_lshlrev_b64 v[7:8], 3, v[7:8]
	v_add_co_u32 v7, vcc_lo, v21, v7
	v_add_co_ci_u32_e64 v8, null, v22, v8, vcc_lo
	global_store_dwordx2 v[7:8], v[9:10], off
	s_branch .LBB1_9
.LBB1_47:
	s_endpgm
	.section	.rodata,"a",@progbits
	.p2align	6, 0x0
	.amdhsa_kernel _ZN9rocsparseL31gebsrmm_general_blockdim_kernelILi32ELi32EdEEv20rocsparse_direction_20rocsparse_operation_iiNS_24const_host_device_scalarIT1_EEPKiS7_PKS4_iiS9_lS5_PS4_l21rocsparse_index_base_b
		.amdhsa_group_segment_fixed_size 16384
		.amdhsa_private_segment_fixed_size 0
		.amdhsa_kernarg_size 104
		.amdhsa_user_sgpr_count 6
		.amdhsa_user_sgpr_private_segment_buffer 1
		.amdhsa_user_sgpr_dispatch_ptr 0
		.amdhsa_user_sgpr_queue_ptr 0
		.amdhsa_user_sgpr_kernarg_segment_ptr 1
		.amdhsa_user_sgpr_dispatch_id 0
		.amdhsa_user_sgpr_flat_scratch_init 0
		.amdhsa_user_sgpr_private_segment_size 0
		.amdhsa_wavefront_size32 1
		.amdhsa_uses_dynamic_stack 0
		.amdhsa_system_sgpr_private_segment_wavefront_offset 0
		.amdhsa_system_sgpr_workgroup_id_x 1
		.amdhsa_system_sgpr_workgroup_id_y 1
		.amdhsa_system_sgpr_workgroup_id_z 0
		.amdhsa_system_sgpr_workgroup_info 0
		.amdhsa_system_vgpr_workitem_id 1
		.amdhsa_next_free_vgpr 41
		.amdhsa_next_free_sgpr 30
		.amdhsa_reserve_vcc 1
		.amdhsa_reserve_flat_scratch 0
		.amdhsa_float_round_mode_32 0
		.amdhsa_float_round_mode_16_64 0
		.amdhsa_float_denorm_mode_32 3
		.amdhsa_float_denorm_mode_16_64 3
		.amdhsa_dx10_clamp 1
		.amdhsa_ieee_mode 1
		.amdhsa_fp16_overflow 0
		.amdhsa_workgroup_processor_mode 1
		.amdhsa_memory_ordered 1
		.amdhsa_forward_progress 1
		.amdhsa_shared_vgpr_count 0
		.amdhsa_exception_fp_ieee_invalid_op 0
		.amdhsa_exception_fp_denorm_src 0
		.amdhsa_exception_fp_ieee_div_zero 0
		.amdhsa_exception_fp_ieee_overflow 0
		.amdhsa_exception_fp_ieee_underflow 0
		.amdhsa_exception_fp_ieee_inexact 0
		.amdhsa_exception_int_div_zero 0
	.end_amdhsa_kernel
	.section	.text._ZN9rocsparseL31gebsrmm_general_blockdim_kernelILi32ELi32EdEEv20rocsparse_direction_20rocsparse_operation_iiNS_24const_host_device_scalarIT1_EEPKiS7_PKS4_iiS9_lS5_PS4_l21rocsparse_index_base_b,"axG",@progbits,_ZN9rocsparseL31gebsrmm_general_blockdim_kernelILi32ELi32EdEEv20rocsparse_direction_20rocsparse_operation_iiNS_24const_host_device_scalarIT1_EEPKiS7_PKS4_iiS9_lS5_PS4_l21rocsparse_index_base_b,comdat
.Lfunc_end1:
	.size	_ZN9rocsparseL31gebsrmm_general_blockdim_kernelILi32ELi32EdEEv20rocsparse_direction_20rocsparse_operation_iiNS_24const_host_device_scalarIT1_EEPKiS7_PKS4_iiS9_lS5_PS4_l21rocsparse_index_base_b, .Lfunc_end1-_ZN9rocsparseL31gebsrmm_general_blockdim_kernelILi32ELi32EdEEv20rocsparse_direction_20rocsparse_operation_iiNS_24const_host_device_scalarIT1_EEPKiS7_PKS4_iiS9_lS5_PS4_l21rocsparse_index_base_b
                                        ; -- End function
	.set _ZN9rocsparseL31gebsrmm_general_blockdim_kernelILi32ELi32EdEEv20rocsparse_direction_20rocsparse_operation_iiNS_24const_host_device_scalarIT1_EEPKiS7_PKS4_iiS9_lS5_PS4_l21rocsparse_index_base_b.num_vgpr, 41
	.set _ZN9rocsparseL31gebsrmm_general_blockdim_kernelILi32ELi32EdEEv20rocsparse_direction_20rocsparse_operation_iiNS_24const_host_device_scalarIT1_EEPKiS7_PKS4_iiS9_lS5_PS4_l21rocsparse_index_base_b.num_agpr, 0
	.set _ZN9rocsparseL31gebsrmm_general_blockdim_kernelILi32ELi32EdEEv20rocsparse_direction_20rocsparse_operation_iiNS_24const_host_device_scalarIT1_EEPKiS7_PKS4_iiS9_lS5_PS4_l21rocsparse_index_base_b.numbered_sgpr, 30
	.set _ZN9rocsparseL31gebsrmm_general_blockdim_kernelILi32ELi32EdEEv20rocsparse_direction_20rocsparse_operation_iiNS_24const_host_device_scalarIT1_EEPKiS7_PKS4_iiS9_lS5_PS4_l21rocsparse_index_base_b.num_named_barrier, 0
	.set _ZN9rocsparseL31gebsrmm_general_blockdim_kernelILi32ELi32EdEEv20rocsparse_direction_20rocsparse_operation_iiNS_24const_host_device_scalarIT1_EEPKiS7_PKS4_iiS9_lS5_PS4_l21rocsparse_index_base_b.private_seg_size, 0
	.set _ZN9rocsparseL31gebsrmm_general_blockdim_kernelILi32ELi32EdEEv20rocsparse_direction_20rocsparse_operation_iiNS_24const_host_device_scalarIT1_EEPKiS7_PKS4_iiS9_lS5_PS4_l21rocsparse_index_base_b.uses_vcc, 1
	.set _ZN9rocsparseL31gebsrmm_general_blockdim_kernelILi32ELi32EdEEv20rocsparse_direction_20rocsparse_operation_iiNS_24const_host_device_scalarIT1_EEPKiS7_PKS4_iiS9_lS5_PS4_l21rocsparse_index_base_b.uses_flat_scratch, 0
	.set _ZN9rocsparseL31gebsrmm_general_blockdim_kernelILi32ELi32EdEEv20rocsparse_direction_20rocsparse_operation_iiNS_24const_host_device_scalarIT1_EEPKiS7_PKS4_iiS9_lS5_PS4_l21rocsparse_index_base_b.has_dyn_sized_stack, 0
	.set _ZN9rocsparseL31gebsrmm_general_blockdim_kernelILi32ELi32EdEEv20rocsparse_direction_20rocsparse_operation_iiNS_24const_host_device_scalarIT1_EEPKiS7_PKS4_iiS9_lS5_PS4_l21rocsparse_index_base_b.has_recursion, 0
	.set _ZN9rocsparseL31gebsrmm_general_blockdim_kernelILi32ELi32EdEEv20rocsparse_direction_20rocsparse_operation_iiNS_24const_host_device_scalarIT1_EEPKiS7_PKS4_iiS9_lS5_PS4_l21rocsparse_index_base_b.has_indirect_call, 0
	.section	.AMDGPU.csdata,"",@progbits
; Kernel info:
; codeLenInByte = 1992
; TotalNumSgprs: 32
; NumVgprs: 41
; ScratchSize: 0
; MemoryBound: 0
; FloatMode: 240
; IeeeMode: 1
; LDSByteSize: 16384 bytes/workgroup (compile time only)
; SGPRBlocks: 0
; VGPRBlocks: 5
; NumSGPRsForWavesPerEU: 32
; NumVGPRsForWavesPerEU: 41
; Occupancy: 16
; WaveLimiterHint : 1
; COMPUTE_PGM_RSRC2:SCRATCH_EN: 0
; COMPUTE_PGM_RSRC2:USER_SGPR: 6
; COMPUTE_PGM_RSRC2:TRAP_HANDLER: 0
; COMPUTE_PGM_RSRC2:TGID_X_EN: 1
; COMPUTE_PGM_RSRC2:TGID_Y_EN: 1
; COMPUTE_PGM_RSRC2:TGID_Z_EN: 0
; COMPUTE_PGM_RSRC2:TIDIG_COMP_CNT: 1
	.section	.text._ZN9rocsparseL31gebsrmm_general_blockdim_kernelILi32ELi32E21rocsparse_complex_numIfEEEv20rocsparse_direction_20rocsparse_operation_iiNS_24const_host_device_scalarIT1_EEPKiS9_PKS6_iiSB_lS7_PS6_l21rocsparse_index_base_b,"axG",@progbits,_ZN9rocsparseL31gebsrmm_general_blockdim_kernelILi32ELi32E21rocsparse_complex_numIfEEEv20rocsparse_direction_20rocsparse_operation_iiNS_24const_host_device_scalarIT1_EEPKiS9_PKS6_iiSB_lS7_PS6_l21rocsparse_index_base_b,comdat
	.globl	_ZN9rocsparseL31gebsrmm_general_blockdim_kernelILi32ELi32E21rocsparse_complex_numIfEEEv20rocsparse_direction_20rocsparse_operation_iiNS_24const_host_device_scalarIT1_EEPKiS9_PKS6_iiSB_lS7_PS6_l21rocsparse_index_base_b ; -- Begin function _ZN9rocsparseL31gebsrmm_general_blockdim_kernelILi32ELi32E21rocsparse_complex_numIfEEEv20rocsparse_direction_20rocsparse_operation_iiNS_24const_host_device_scalarIT1_EEPKiS9_PKS6_iiSB_lS7_PS6_l21rocsparse_index_base_b
	.p2align	8
	.type	_ZN9rocsparseL31gebsrmm_general_blockdim_kernelILi32ELi32E21rocsparse_complex_numIfEEEv20rocsparse_direction_20rocsparse_operation_iiNS_24const_host_device_scalarIT1_EEPKiS9_PKS6_iiSB_lS7_PS6_l21rocsparse_index_base_b,@function
_ZN9rocsparseL31gebsrmm_general_blockdim_kernelILi32ELi32E21rocsparse_complex_numIfEEEv20rocsparse_direction_20rocsparse_operation_iiNS_24const_host_device_scalarIT1_EEPKiS9_PKS6_iiSB_lS7_PS6_l21rocsparse_index_base_b: ; @_ZN9rocsparseL31gebsrmm_general_blockdim_kernelILi32ELi32E21rocsparse_complex_numIfEEEv20rocsparse_direction_20rocsparse_operation_iiNS_24const_host_device_scalarIT1_EEPKiS9_PKS6_iiSB_lS7_PS6_l21rocsparse_index_base_b
; %bb.0:
	s_clause 0x2
	s_load_dwordx2 s[24:25], s[4:5], 0x60
	s_load_dwordx2 s[0:1], s[4:5], 0x10
	s_load_dwordx4 s[8:11], s[4:5], 0x40
	s_add_u32 s2, s4, 16
	s_addc_u32 s3, s5, 0
	s_add_u32 s12, s4, 0x48
	s_addc_u32 s13, s5, 0
	s_waitcnt lgkmcnt(0)
	s_bitcmp1_b32 s25, 0
	s_cselect_b32 s0, s2, s0
	s_cselect_b32 s1, s3, s1
	v_mov_b32_e32 v2, s0
	v_mov_b32_e32 v3, s1
	s_cselect_b32 s0, s12, s10
	s_cselect_b32 s1, s13, s11
	v_mov_b32_e32 v4, s0
	v_mov_b32_e32 v5, s1
	flat_load_dwordx2 v[2:3], v[2:3]
	flat_load_dwordx2 v[4:5], v[4:5]
	s_waitcnt vmcnt(1) lgkmcnt(1)
	v_cmp_eq_f32_e32 vcc_lo, 0, v2
	v_cmp_eq_f32_e64 s0, 0, v3
	s_and_b32 s2, vcc_lo, s0
	s_mov_b32 s0, -1
	s_and_saveexec_b32 s1, s2
	s_cbranch_execz .LBB2_2
; %bb.1:
	s_waitcnt vmcnt(0) lgkmcnt(0)
	v_cmp_neq_f32_e32 vcc_lo, 1.0, v4
	v_cmp_neq_f32_e64 s0, 0, v5
	s_or_b32 s0, vcc_lo, s0
	s_orn2_b32 s0, s0, exec_lo
.LBB2_2:
	s_or_b32 exec_lo, exec_lo, s1
	s_and_saveexec_b32 s1, s0
	s_cbranch_execz .LBB2_47
; %bb.3:
	s_load_dwordx4 s[16:19], s[4:5], 0x0
	s_mov_b32 s25, 0
	s_waitcnt lgkmcnt(0)
	s_cmp_lt_i32 s6, s18
	s_cselect_b32 s1, -1, 0
	s_cmp_ge_i32 s6, s18
	s_mov_b32 s18, 0
	s_cbranch_scc1 .LBB2_5
; %bb.4:
	s_load_dwordx2 s[2:3], s[4:5], 0x18
	s_mov_b32 s0, s7
	s_ashr_i32 s7, s6, 31
	s_lshl_b64 s[10:11], s[6:7], 2
	s_mov_b32 s7, s0
	s_waitcnt lgkmcnt(0)
	s_add_u32 s2, s2, s10
	s_addc_u32 s3, s3, s11
	s_load_dwordx2 s[2:3], s[2:3], 0x0
	s_waitcnt lgkmcnt(0)
	s_sub_i32 s18, s2, s24
	s_sub_i32 s25, s3, s24
.LBB2_5:
	s_load_dwordx2 s[10:11], s[4:5], 0x30
	s_waitcnt lgkmcnt(0)
	s_cmp_lt_i32 s10, 1
	s_cbranch_scc1 .LBB2_47
; %bb.6:
	s_clause 0x2
	s_load_dwordx4 s[20:23], s[4:5], 0x50
	s_load_dwordx4 s[12:15], s[4:5], 0x20
	s_load_dwordx2 s[2:3], s[4:5], 0x38
	v_lshl_add_u32 v6, s7, 5, v1
	s_cmp_lt_i32 s18, s25
	v_lshlrev_b32_e32 v13, 3, v0
	s_mul_i32 s4, s10, s6
	s_cselect_b32 s6, -1, 0
	v_ashrrev_i32_e32 v7, 31, v6
	v_mul_lo_u32 v12, s9, v6
	v_mad_u64_u32 v[8:9], null, s8, v6, 0
	v_cmp_gt_i32_e64 s0, s19, v6
	v_mul_lo_u32 v14, s8, v7
	v_lshlrev_b64 v[10:11], 3, v[6:7]
	s_cmp_gt_i32 s11, 0
	v_or_b32_e32 v21, 0x2000, v13
	s_cselect_b32 s7, -1, 0
	s_cmpk_lg_i32 s17, 0x6f
	v_add_nc_u32_e32 v23, 0x800, v13
	s_waitcnt lgkmcnt(0)
	v_mul_lo_u32 v7, s22, v7
	v_mul_lo_u32 v16, s23, v6
	v_mad_u64_u32 v[19:20], null, s22, v6, 0
	v_add3_u32 v9, v9, v14, v12
	v_add_co_u32 v14, vcc_lo, s2, v10
	v_add_co_ci_u32_e64 v15, null, s3, v11, vcc_lo
	s_cselect_b32 s17, -1, 0
	v_add3_u32 v20, v20, v7, v16
	v_lshlrev_b64 v[7:8], 3, v[8:9]
	v_lshlrev_b32_e32 v16, 8, v1
	s_cmp_lg_u32 s16, 0
	v_add_nc_u32_e32 v24, 0x1000, v13
	s_cselect_b32 s16, -1, 0
	s_and_b32 s19, s1, s0
	v_add_co_u32 v17, vcc_lo, s2, v7
	v_add_co_ci_u32_e64 v18, null, s3, v8, vcc_lo
	v_lshlrev_b64 v[6:7], 3, v[19:20]
	v_mad_u64_u32 v[8:9], null, s18, s10, v[0:1]
	s_waitcnt vmcnt(0)
	v_cmp_neq_f32_e32 vcc_lo, 0, v4
	v_cmp_neq_f32_e64 s1, 0, v5
	v_add_nc_u32_e32 v21, v21, v16
	v_add_co_u32 v19, s2, s20, v6
	v_add_co_ci_u32_e64 v20, null, s21, v7, s2
	v_mad_u64_u32 v[6:7], null, s11, v8, v[1:2]
	v_add_nc_u32_e32 v22, v13, v16
	v_add_nc_u32_e32 v25, 0x1800, v13
	s_mov_b32 s5, 0
	s_or_b32 s20, vcc_lo, s1
	s_lshl_b32 s21, s11, 5
	s_mul_i32 s22, s11, s10
	s_branch .LBB2_8
.LBB2_7:                                ;   in Loop: Header=BB2_8 Depth=1
	s_or_b32 exec_lo, exec_lo, s1
	v_add_nc_u32_e32 v6, s21, v6
	s_add_i32 s5, s5, 32
	s_cmp_lt_i32 s5, s10
	s_cbranch_scc0 .LBB2_47
.LBB2_8:                                ; =>This Loop Header: Depth=1
                                        ;     Child Loop BB2_11 Depth 2
                                        ;       Child Loop BB2_14 Depth 3
	v_add_nc_u32_e32 v7, s5, v0
	v_mov_b32_e32 v26, 0
	v_mov_b32_e32 v28, 0
	s_andn2_b32 vcc_lo, exec_lo, s6
	v_cmp_gt_i32_e64 s1, s10, v7
	s_cbranch_vccnz .LBB2_42
; %bb.9:                                ;   in Loop: Header=BB2_8 Depth=1
	v_mov_b32_e32 v26, 0
	v_mov_b32_e32 v27, v6
	;; [unrolled: 1-line block ×3, first 2 shown]
	s_mov_b32 s2, s18
	s_branch .LBB2_11
.LBB2_10:                               ;   in Loop: Header=BB2_11 Depth=2
	v_add_nc_u32_e32 v27, s22, v27
	s_add_i32 s2, s2, 1
	s_cmp_ge_i32 s2, s25
	s_cbranch_scc1 .LBB2_42
.LBB2_11:                               ;   Parent Loop BB2_8 Depth=1
                                        ; =>  This Loop Header: Depth=2
                                        ;       Child Loop BB2_14 Depth 3
	s_andn2_b32 vcc_lo, exec_lo, s7
	s_cbranch_vccnz .LBB2_10
; %bb.12:                               ;   in Loop: Header=BB2_11 Depth=2
	s_ashr_i32 s3, s2, 31
	s_mov_b32 s23, 0
	s_lshl_b64 s[26:27], s[2:3], 2
	s_add_u32 s26, s12, s26
	s_addc_u32 s27, s13, s27
	s_load_dword s3, s[26:27], 0x0
	s_waitcnt lgkmcnt(0)
	s_sub_i32 s3, s3, s24
	v_mad_u64_u32 v[8:9], null, s3, s11, v[0:1]
	s_mul_i32 s3, s2, s11
	s_branch .LBB2_14
.LBB2_13:                               ;   in Loop: Header=BB2_14 Depth=3
	s_or_b32 exec_lo, exec_lo, s27
	s_waitcnt vmcnt(0)
	ds_write_b64 v22, v[10:11]
	s_waitcnt lgkmcnt(0)
	s_barrier
	buffer_gl0_inv
	ds_read2_b64 v[9:12], v13 offset1:32
	ds_read_b128 v[29:32], v16 offset:8192
	ds_read_b128 v[33:36], v16 offset:8208
	ds_read2_b64 v[37:40], v13 offset0:64 offset1:96
	s_add_i32 s23, s23, 32
	s_cmp_ge_i32 s23, s11
	s_waitcnt lgkmcnt(2)
	v_fmac_f32_e32 v28, v9, v29
	v_fmac_f32_e32 v26, v10, v29
	v_fma_f32 v10, -v10, v30, v28
	v_fmac_f32_e32 v26, v9, v30
	v_fmac_f32_e32 v10, v11, v31
	;; [unrolled: 1-line block ×3, first 2 shown]
	v_fma_f32 v41, -v12, v32, v10
	v_fmac_f32_e32 v26, v11, v32
	ds_read_b128 v[9:12], v16 offset:8224
	ds_read2_b64 v[28:31], v13 offset0:128 offset1:160
	s_waitcnt lgkmcnt(2)
	v_fmac_f32_e32 v41, v37, v33
	v_fmac_f32_e32 v26, v38, v33
	v_fma_f32 v32, -v38, v34, v41
	v_fmac_f32_e32 v26, v37, v34
	v_fmac_f32_e32 v32, v39, v35
	;; [unrolled: 1-line block ×3, first 2 shown]
	v_fma_f32 v40, -v40, v36, v32
	v_fmac_f32_e32 v26, v39, v36
	ds_read_b128 v[32:35], v16 offset:8240
	ds_read2_b64 v[36:39], v13 offset0:192 offset1:224
	s_waitcnt lgkmcnt(2)
	v_fmac_f32_e32 v40, v28, v9
	v_fmac_f32_e32 v26, v29, v9
	v_fma_f32 v9, -v29, v10, v40
	v_fmac_f32_e32 v26, v28, v10
	v_fmac_f32_e32 v9, v30, v11
	v_fmac_f32_e32 v26, v31, v11
	v_fma_f32 v40, -v31, v12, v9
	v_fmac_f32_e32 v26, v30, v12
	ds_read2_b64 v[9:12], v23 offset1:32
	ds_read_b128 v[28:31], v16 offset:8256
	s_waitcnt lgkmcnt(2)
	v_fmac_f32_e32 v40, v36, v32
	v_fmac_f32_e32 v26, v37, v32
	v_fma_f32 v32, -v37, v33, v40
	v_fmac_f32_e32 v26, v36, v33
	v_fmac_f32_e32 v32, v38, v34
	v_fmac_f32_e32 v26, v39, v34
	v_fma_f32 v40, -v39, v35, v32
	v_fmac_f32_e32 v26, v38, v35
	ds_read2_b64 v[32:35], v23 offset0:64 offset1:96
	ds_read_b128 v[36:39], v16 offset:8272
	s_waitcnt lgkmcnt(2)
	v_fmac_f32_e32 v40, v9, v28
	v_fmac_f32_e32 v26, v10, v28
	v_fma_f32 v10, -v10, v29, v40
	v_fmac_f32_e32 v26, v9, v29
	v_fmac_f32_e32 v10, v11, v30
	v_fmac_f32_e32 v26, v12, v30
	v_fma_f32 v40, -v12, v31, v10
	v_fmac_f32_e32 v26, v11, v31
	ds_read2_b64 v[9:12], v23 offset0:128 offset1:160
	ds_read_b128 v[28:31], v16 offset:8288
	s_waitcnt lgkmcnt(2)
	v_fmac_f32_e32 v40, v32, v36
	v_fmac_f32_e32 v26, v33, v36
	v_fma_f32 v33, -v33, v37, v40
	v_fmac_f32_e32 v26, v32, v37
	v_fmac_f32_e32 v33, v34, v38
	v_fmac_f32_e32 v26, v35, v38
	v_fma_f32 v40, -v35, v39, v33
	v_fmac_f32_e32 v26, v34, v39
	ds_read2_b64 v[32:35], v23 offset0:192 offset1:224
	ds_read_b128 v[36:39], v16 offset:8304
	s_waitcnt lgkmcnt(2)
	v_fmac_f32_e32 v40, v9, v28
	v_fmac_f32_e32 v26, v10, v28
	v_fma_f32 v10, -v10, v29, v40
	v_fmac_f32_e32 v26, v9, v29
	v_fmac_f32_e32 v10, v11, v30
	v_fmac_f32_e32 v26, v12, v30
	v_fma_f32 v40, -v12, v31, v10
	v_fmac_f32_e32 v26, v11, v31
	ds_read2_b64 v[9:12], v24 offset1:32
	ds_read_b128 v[28:31], v16 offset:8320
	s_waitcnt lgkmcnt(2)
	v_fmac_f32_e32 v40, v32, v36
	v_fmac_f32_e32 v26, v33, v36
	v_fma_f32 v33, -v33, v37, v40
	v_fmac_f32_e32 v26, v32, v37
	v_fmac_f32_e32 v33, v34, v38
	v_fmac_f32_e32 v26, v35, v38
	v_fma_f32 v40, -v35, v39, v33
	v_fmac_f32_e32 v26, v34, v39
	ds_read2_b64 v[32:35], v24 offset0:64 offset1:96
	ds_read_b128 v[36:39], v16 offset:8336
	s_waitcnt lgkmcnt(2)
	v_fmac_f32_e32 v40, v9, v28
	v_fmac_f32_e32 v26, v10, v28
	v_fma_f32 v10, -v10, v29, v40
	v_fmac_f32_e32 v26, v9, v29
	v_fmac_f32_e32 v10, v11, v30
	v_fmac_f32_e32 v26, v12, v30
	v_fma_f32 v40, -v12, v31, v10
	v_fmac_f32_e32 v26, v11, v31
	ds_read2_b64 v[9:12], v24 offset0:128 offset1:160
	ds_read_b128 v[28:31], v16 offset:8352
	s_waitcnt lgkmcnt(2)
	v_fmac_f32_e32 v40, v32, v36
	v_fmac_f32_e32 v26, v33, v36
	v_fma_f32 v33, -v33, v37, v40
	v_fmac_f32_e32 v26, v32, v37
	v_fmac_f32_e32 v33, v34, v38
	v_fmac_f32_e32 v26, v35, v38
	v_fma_f32 v40, -v35, v39, v33
	v_fmac_f32_e32 v26, v34, v39
	ds_read2_b64 v[32:35], v24 offset0:192 offset1:224
	ds_read_b128 v[36:39], v16 offset:8368
	;; [unrolled: 44-line block ×3, first 2 shown]
	s_waitcnt lgkmcnt(0)
	s_barrier
	v_fmac_f32_e32 v40, v9, v28
	v_fmac_f32_e32 v26, v10, v28
	buffer_gl0_inv
	v_fma_f32 v10, -v10, v29, v40
	v_fmac_f32_e32 v26, v9, v29
	v_fmac_f32_e32 v10, v11, v30
	v_fmac_f32_e32 v26, v12, v30
	v_fma_f32 v9, -v12, v31, v10
	v_fmac_f32_e32 v26, v11, v31
	v_fmac_f32_e32 v9, v32, v36
	v_fmac_f32_e32 v26, v33, v36
	;; [unrolled: 4-line block ×3, first 2 shown]
	v_fma_f32 v28, -v35, v39, v9
	v_fmac_f32_e32 v26, v34, v39
	s_cbranch_scc1 .LBB2_10
.LBB2_14:                               ;   Parent Loop BB2_8 Depth=1
                                        ;     Parent Loop BB2_11 Depth=2
                                        ; =>    This Inner Loop Header: Depth=3
	s_mov_b32 s27, -1
	s_and_b32 vcc_lo, exec_lo, s17
	s_mov_b32 s26, 0
                                        ; implicit-def: $vgpr9_vgpr10
	s_cbranch_vccnz .LBB2_24
; %bb.15:                               ;   in Loop: Header=BB2_14 Depth=3
	s_and_b32 vcc_lo, exec_lo, s27
	s_cbranch_vccnz .LBB2_29
.LBB2_16:                               ;   in Loop: Header=BB2_14 Depth=3
	v_mov_b32_e32 v11, 0
	v_mov_b32_e32 v12, 0
	s_and_saveexec_b32 s27, s26
	s_cbranch_execnz .LBB2_34
.LBB2_17:                               ;   in Loop: Header=BB2_14 Depth=3
	s_or_b32 exec_lo, exec_lo, s27
	s_and_b32 vcc_lo, exec_lo, s16
	ds_write_b64 v21, v[11:12]
	s_cbranch_vccz .LBB2_35
.LBB2_18:                               ;   in Loop: Header=BB2_14 Depth=3
	s_mov_b32 s27, 0
	s_mov_b32 s26, 0
                                        ; implicit-def: $vgpr9
	s_and_saveexec_b32 s28, s1
	s_cbranch_execz .LBB2_22
; %bb.19:                               ;   in Loop: Header=BB2_14 Depth=3
	v_add_nc_u32_e32 v10, s23, v1
	s_mov_b32 s29, exec_lo
                                        ; implicit-def: $vgpr9
	v_cmpx_gt_i32_e64 s11, v10
	s_xor_b32 s29, exec_lo, s29
; %bb.20:                               ;   in Loop: Header=BB2_14 Depth=3
	v_add_nc_u32_e32 v9, s3, v10
	s_mov_b32 s26, exec_lo
	v_mad_u64_u32 v[9:10], null, v9, s10, v[7:8]
; %bb.21:                               ;   in Loop: Header=BB2_14 Depth=3
	s_or_b32 exec_lo, exec_lo, s29
	s_and_b32 s26, s26, exec_lo
.LBB2_22:                               ;   in Loop: Header=BB2_14 Depth=3
	s_or_b32 exec_lo, exec_lo, s28
	s_and_b32 vcc_lo, exec_lo, s27
	s_cbranch_vccnz .LBB2_36
.LBB2_23:                               ;   in Loop: Header=BB2_14 Depth=3
	v_mov_b32_e32 v10, 0
	v_mov_b32_e32 v11, 0
	s_and_saveexec_b32 s27, s26
	s_cbranch_execz .LBB2_13
	s_branch .LBB2_41
.LBB2_24:                               ;   in Loop: Header=BB2_14 Depth=3
	s_mov_b32 s27, 0
                                        ; implicit-def: $vgpr9_vgpr10
	s_and_saveexec_b32 s28, s0
	s_cbranch_execz .LBB2_28
; %bb.25:                               ;   in Loop: Header=BB2_14 Depth=3
	v_add_nc_u32_e32 v9, s23, v0
	v_cmp_gt_i32_e32 vcc_lo, s11, v9
                                        ; implicit-def: $vgpr9_vgpr10
	s_and_saveexec_b32 s29, vcc_lo
	s_xor_b32 s29, exec_lo, s29
	s_cbranch_execz .LBB2_27
; %bb.26:                               ;   in Loop: Header=BB2_14 Depth=3
	v_add_nc_u32_e32 v9, s23, v8
	s_mov_b32 s26, exec_lo
	v_ashrrev_i32_e32 v11, 31, v9
	v_mul_lo_u32 v12, s9, v9
	v_mad_u64_u32 v[9:10], null, s8, v9, 0
	v_mul_lo_u32 v11, s8, v11
	v_add3_u32 v10, v10, v11, v12
	v_lshlrev_b64 v[9:10], 3, v[9:10]
	v_add_co_u32 v9, vcc_lo, v14, v9
	v_add_co_ci_u32_e64 v10, null, v15, v10, vcc_lo
.LBB2_27:                               ;   in Loop: Header=BB2_14 Depth=3
	s_or_b32 exec_lo, exec_lo, s29
	s_and_b32 s26, s26, exec_lo
.LBB2_28:                               ;   in Loop: Header=BB2_14 Depth=3
	s_or_b32 exec_lo, exec_lo, s28
	s_and_b32 vcc_lo, exec_lo, s27
	s_cbranch_vccz .LBB2_16
.LBB2_29:                               ;   in Loop: Header=BB2_14 Depth=3
                                        ; implicit-def: $vgpr9_vgpr10
	s_and_saveexec_b32 s27, s0
	s_cbranch_execz .LBB2_33
; %bb.30:                               ;   in Loop: Header=BB2_14 Depth=3
	v_add_nc_u32_e32 v9, s23, v0
	s_mov_b32 s29, s26
	v_cmp_gt_i32_e32 vcc_lo, s11, v9
                                        ; implicit-def: $vgpr9_vgpr10
	s_and_saveexec_b32 s28, vcc_lo
; %bb.31:                               ;   in Loop: Header=BB2_14 Depth=3
	v_add_nc_u32_e32 v9, s23, v8
	s_or_b32 s29, s26, exec_lo
	v_ashrrev_i32_e32 v10, 31, v9
	v_lshlrev_b64 v[9:10], 3, v[9:10]
	v_add_co_u32 v9, vcc_lo, v17, v9
	v_add_co_ci_u32_e64 v10, null, v18, v10, vcc_lo
; %bb.32:                               ;   in Loop: Header=BB2_14 Depth=3
	s_or_b32 exec_lo, exec_lo, s28
	s_andn2_b32 s26, s26, exec_lo
	s_and_b32 s28, s29, exec_lo
	s_or_b32 s26, s26, s28
.LBB2_33:                               ;   in Loop: Header=BB2_14 Depth=3
	s_or_b32 exec_lo, exec_lo, s27
	v_mov_b32_e32 v11, 0
	v_mov_b32_e32 v12, 0
	s_and_saveexec_b32 s27, s26
	s_cbranch_execz .LBB2_17
.LBB2_34:                               ;   in Loop: Header=BB2_14 Depth=3
	global_load_dwordx2 v[11:12], v[9:10], off
	s_or_b32 exec_lo, exec_lo, s27
	s_and_b32 vcc_lo, exec_lo, s16
	s_waitcnt vmcnt(0)
	ds_write_b64 v21, v[11:12]
	s_cbranch_vccnz .LBB2_18
.LBB2_35:                               ;   in Loop: Header=BB2_14 Depth=3
	s_mov_b32 s26, 0
                                        ; implicit-def: $vgpr9
	s_cbranch_execz .LBB2_23
.LBB2_36:                               ;   in Loop: Header=BB2_14 Depth=3
                                        ; implicit-def: $vgpr9
	s_and_saveexec_b32 s27, s1
	s_cbranch_execz .LBB2_40
; %bb.37:                               ;   in Loop: Header=BB2_14 Depth=3
	v_add_nc_u32_e32 v9, s23, v1
	s_mov_b32 s28, s26
	v_cmp_gt_i32_e32 vcc_lo, s11, v9
                                        ; implicit-def: $vgpr9
	s_and_saveexec_b32 s29, vcc_lo
; %bb.38:                               ;   in Loop: Header=BB2_14 Depth=3
	v_add_nc_u32_e32 v9, s23, v27
	s_or_b32 s28, s26, exec_lo
; %bb.39:                               ;   in Loop: Header=BB2_14 Depth=3
	s_or_b32 exec_lo, exec_lo, s29
	s_andn2_b32 s26, s26, exec_lo
	s_and_b32 s28, s28, exec_lo
	s_or_b32 s26, s26, s28
.LBB2_40:                               ;   in Loop: Header=BB2_14 Depth=3
	s_or_b32 exec_lo, exec_lo, s27
	v_mov_b32_e32 v10, 0
	v_mov_b32_e32 v11, 0
	s_and_saveexec_b32 s27, s26
	s_cbranch_execz .LBB2_13
.LBB2_41:                               ;   in Loop: Header=BB2_14 Depth=3
	v_ashrrev_i32_e32 v10, 31, v9
	v_lshlrev_b64 v[9:10], 3, v[9:10]
	v_add_co_u32 v9, vcc_lo, s14, v9
	v_add_co_ci_u32_e64 v10, null, s15, v10, vcc_lo
	global_load_dwordx2 v[10:11], v[9:10], off
	s_branch .LBB2_13
.LBB2_42:                               ;   in Loop: Header=BB2_8 Depth=1
	v_cmp_gt_i32_e32 vcc_lo, s10, v7
	s_and_b32 s2, s19, vcc_lo
	s_and_saveexec_b32 s1, s2
	s_cbranch_execz .LBB2_7
; %bb.43:                               ;   in Loop: Header=BB2_8 Depth=1
	v_add_nc_u32_e32 v7, s4, v7
	s_and_saveexec_b32 s2, s20
	s_xor_b32 s2, exec_lo, s2
	s_cbranch_execz .LBB2_45
; %bb.44:                               ;   in Loop: Header=BB2_8 Depth=1
	v_ashrrev_i32_e32 v8, 31, v7
	v_mul_f32_e64 v11, v26, -v3
	v_mul_f32_e32 v12, v2, v26
                                        ; implicit-def: $vgpr26
	v_lshlrev_b64 v[7:8], 3, v[7:8]
	v_fmac_f32_e32 v11, v2, v28
	v_fmac_f32_e32 v12, v3, v28
                                        ; implicit-def: $vgpr28
	v_add_co_u32 v7, vcc_lo, v19, v7
	v_add_co_ci_u32_e64 v8, null, v20, v8, vcc_lo
	global_load_dwordx2 v[9:10], v[7:8], off
	s_waitcnt vmcnt(0)
	v_fmac_f32_e32 v11, v4, v9
	v_fmac_f32_e32 v12, v5, v9
	v_fma_f32 v11, -v5, v10, v11
	v_fmac_f32_e32 v12, v4, v10
	global_store_dwordx2 v[7:8], v[11:12], off
                                        ; implicit-def: $vgpr7
.LBB2_45:                               ;   in Loop: Header=BB2_8 Depth=1
	s_andn2_saveexec_b32 s2, s2
	s_cbranch_execz .LBB2_7
; %bb.46:                               ;   in Loop: Header=BB2_8 Depth=1
	v_ashrrev_i32_e32 v8, 31, v7
	v_mul_f32_e64 v9, v26, -v3
	v_mul_f32_e32 v10, v2, v26
	v_lshlrev_b64 v[7:8], 3, v[7:8]
	v_fmac_f32_e32 v9, v2, v28
	v_fmac_f32_e32 v10, v3, v28
	v_add_co_u32 v7, vcc_lo, v19, v7
	v_add_co_ci_u32_e64 v8, null, v20, v8, vcc_lo
	global_store_dwordx2 v[7:8], v[9:10], off
	s_branch .LBB2_7
.LBB2_47:
	s_endpgm
	.section	.rodata,"a",@progbits
	.p2align	6, 0x0
	.amdhsa_kernel _ZN9rocsparseL31gebsrmm_general_blockdim_kernelILi32ELi32E21rocsparse_complex_numIfEEEv20rocsparse_direction_20rocsparse_operation_iiNS_24const_host_device_scalarIT1_EEPKiS9_PKS6_iiSB_lS7_PS6_l21rocsparse_index_base_b
		.amdhsa_group_segment_fixed_size 16384
		.amdhsa_private_segment_fixed_size 0
		.amdhsa_kernarg_size 104
		.amdhsa_user_sgpr_count 6
		.amdhsa_user_sgpr_private_segment_buffer 1
		.amdhsa_user_sgpr_dispatch_ptr 0
		.amdhsa_user_sgpr_queue_ptr 0
		.amdhsa_user_sgpr_kernarg_segment_ptr 1
		.amdhsa_user_sgpr_dispatch_id 0
		.amdhsa_user_sgpr_flat_scratch_init 0
		.amdhsa_user_sgpr_private_segment_size 0
		.amdhsa_wavefront_size32 1
		.amdhsa_uses_dynamic_stack 0
		.amdhsa_system_sgpr_private_segment_wavefront_offset 0
		.amdhsa_system_sgpr_workgroup_id_x 1
		.amdhsa_system_sgpr_workgroup_id_y 1
		.amdhsa_system_sgpr_workgroup_id_z 0
		.amdhsa_system_sgpr_workgroup_info 0
		.amdhsa_system_vgpr_workitem_id 1
		.amdhsa_next_free_vgpr 42
		.amdhsa_next_free_sgpr 30
		.amdhsa_reserve_vcc 1
		.amdhsa_reserve_flat_scratch 0
		.amdhsa_float_round_mode_32 0
		.amdhsa_float_round_mode_16_64 0
		.amdhsa_float_denorm_mode_32 3
		.amdhsa_float_denorm_mode_16_64 3
		.amdhsa_dx10_clamp 1
		.amdhsa_ieee_mode 1
		.amdhsa_fp16_overflow 0
		.amdhsa_workgroup_processor_mode 1
		.amdhsa_memory_ordered 1
		.amdhsa_forward_progress 1
		.amdhsa_shared_vgpr_count 0
		.amdhsa_exception_fp_ieee_invalid_op 0
		.amdhsa_exception_fp_denorm_src 0
		.amdhsa_exception_fp_ieee_div_zero 0
		.amdhsa_exception_fp_ieee_overflow 0
		.amdhsa_exception_fp_ieee_underflow 0
		.amdhsa_exception_fp_ieee_inexact 0
		.amdhsa_exception_int_div_zero 0
	.end_amdhsa_kernel
	.section	.text._ZN9rocsparseL31gebsrmm_general_blockdim_kernelILi32ELi32E21rocsparse_complex_numIfEEEv20rocsparse_direction_20rocsparse_operation_iiNS_24const_host_device_scalarIT1_EEPKiS9_PKS6_iiSB_lS7_PS6_l21rocsparse_index_base_b,"axG",@progbits,_ZN9rocsparseL31gebsrmm_general_blockdim_kernelILi32ELi32E21rocsparse_complex_numIfEEEv20rocsparse_direction_20rocsparse_operation_iiNS_24const_host_device_scalarIT1_EEPKiS9_PKS6_iiSB_lS7_PS6_l21rocsparse_index_base_b,comdat
.Lfunc_end2:
	.size	_ZN9rocsparseL31gebsrmm_general_blockdim_kernelILi32ELi32E21rocsparse_complex_numIfEEEv20rocsparse_direction_20rocsparse_operation_iiNS_24const_host_device_scalarIT1_EEPKiS9_PKS6_iiSB_lS7_PS6_l21rocsparse_index_base_b, .Lfunc_end2-_ZN9rocsparseL31gebsrmm_general_blockdim_kernelILi32ELi32E21rocsparse_complex_numIfEEEv20rocsparse_direction_20rocsparse_operation_iiNS_24const_host_device_scalarIT1_EEPKiS9_PKS6_iiSB_lS7_PS6_l21rocsparse_index_base_b
                                        ; -- End function
	.set _ZN9rocsparseL31gebsrmm_general_blockdim_kernelILi32ELi32E21rocsparse_complex_numIfEEEv20rocsparse_direction_20rocsparse_operation_iiNS_24const_host_device_scalarIT1_EEPKiS9_PKS6_iiSB_lS7_PS6_l21rocsparse_index_base_b.num_vgpr, 42
	.set _ZN9rocsparseL31gebsrmm_general_blockdim_kernelILi32ELi32E21rocsparse_complex_numIfEEEv20rocsparse_direction_20rocsparse_operation_iiNS_24const_host_device_scalarIT1_EEPKiS9_PKS6_iiSB_lS7_PS6_l21rocsparse_index_base_b.num_agpr, 0
	.set _ZN9rocsparseL31gebsrmm_general_blockdim_kernelILi32ELi32E21rocsparse_complex_numIfEEEv20rocsparse_direction_20rocsparse_operation_iiNS_24const_host_device_scalarIT1_EEPKiS9_PKS6_iiSB_lS7_PS6_l21rocsparse_index_base_b.numbered_sgpr, 30
	.set _ZN9rocsparseL31gebsrmm_general_blockdim_kernelILi32ELi32E21rocsparse_complex_numIfEEEv20rocsparse_direction_20rocsparse_operation_iiNS_24const_host_device_scalarIT1_EEPKiS9_PKS6_iiSB_lS7_PS6_l21rocsparse_index_base_b.num_named_barrier, 0
	.set _ZN9rocsparseL31gebsrmm_general_blockdim_kernelILi32ELi32E21rocsparse_complex_numIfEEEv20rocsparse_direction_20rocsparse_operation_iiNS_24const_host_device_scalarIT1_EEPKiS9_PKS6_iiSB_lS7_PS6_l21rocsparse_index_base_b.private_seg_size, 0
	.set _ZN9rocsparseL31gebsrmm_general_blockdim_kernelILi32ELi32E21rocsparse_complex_numIfEEEv20rocsparse_direction_20rocsparse_operation_iiNS_24const_host_device_scalarIT1_EEPKiS9_PKS6_iiSB_lS7_PS6_l21rocsparse_index_base_b.uses_vcc, 1
	.set _ZN9rocsparseL31gebsrmm_general_blockdim_kernelILi32ELi32E21rocsparse_complex_numIfEEEv20rocsparse_direction_20rocsparse_operation_iiNS_24const_host_device_scalarIT1_EEPKiS9_PKS6_iiSB_lS7_PS6_l21rocsparse_index_base_b.uses_flat_scratch, 0
	.set _ZN9rocsparseL31gebsrmm_general_blockdim_kernelILi32ELi32E21rocsparse_complex_numIfEEEv20rocsparse_direction_20rocsparse_operation_iiNS_24const_host_device_scalarIT1_EEPKiS9_PKS6_iiSB_lS7_PS6_l21rocsparse_index_base_b.has_dyn_sized_stack, 0
	.set _ZN9rocsparseL31gebsrmm_general_blockdim_kernelILi32ELi32E21rocsparse_complex_numIfEEEv20rocsparse_direction_20rocsparse_operation_iiNS_24const_host_device_scalarIT1_EEPKiS9_PKS6_iiSB_lS7_PS6_l21rocsparse_index_base_b.has_recursion, 0
	.set _ZN9rocsparseL31gebsrmm_general_blockdim_kernelILi32ELi32E21rocsparse_complex_numIfEEEv20rocsparse_direction_20rocsparse_operation_iiNS_24const_host_device_scalarIT1_EEPKiS9_PKS6_iiSB_lS7_PS6_l21rocsparse_index_base_b.has_indirect_call, 0
	.section	.AMDGPU.csdata,"",@progbits
; Kernel info:
; codeLenInByte = 2476
; TotalNumSgprs: 32
; NumVgprs: 42
; ScratchSize: 0
; MemoryBound: 0
; FloatMode: 240
; IeeeMode: 1
; LDSByteSize: 16384 bytes/workgroup (compile time only)
; SGPRBlocks: 0
; VGPRBlocks: 5
; NumSGPRsForWavesPerEU: 32
; NumVGPRsForWavesPerEU: 42
; Occupancy: 16
; WaveLimiterHint : 0
; COMPUTE_PGM_RSRC2:SCRATCH_EN: 0
; COMPUTE_PGM_RSRC2:USER_SGPR: 6
; COMPUTE_PGM_RSRC2:TRAP_HANDLER: 0
; COMPUTE_PGM_RSRC2:TGID_X_EN: 1
; COMPUTE_PGM_RSRC2:TGID_Y_EN: 1
; COMPUTE_PGM_RSRC2:TGID_Z_EN: 0
; COMPUTE_PGM_RSRC2:TIDIG_COMP_CNT: 1
	.section	.text._ZN9rocsparseL31gebsrmm_general_blockdim_kernelILi32ELi32E21rocsparse_complex_numIdEEEv20rocsparse_direction_20rocsparse_operation_iiNS_24const_host_device_scalarIT1_EEPKiS9_PKS6_iiSB_lS7_PS6_l21rocsparse_index_base_b,"axG",@progbits,_ZN9rocsparseL31gebsrmm_general_blockdim_kernelILi32ELi32E21rocsparse_complex_numIdEEEv20rocsparse_direction_20rocsparse_operation_iiNS_24const_host_device_scalarIT1_EEPKiS9_PKS6_iiSB_lS7_PS6_l21rocsparse_index_base_b,comdat
	.globl	_ZN9rocsparseL31gebsrmm_general_blockdim_kernelILi32ELi32E21rocsparse_complex_numIdEEEv20rocsparse_direction_20rocsparse_operation_iiNS_24const_host_device_scalarIT1_EEPKiS9_PKS6_iiSB_lS7_PS6_l21rocsparse_index_base_b ; -- Begin function _ZN9rocsparseL31gebsrmm_general_blockdim_kernelILi32ELi32E21rocsparse_complex_numIdEEEv20rocsparse_direction_20rocsparse_operation_iiNS_24const_host_device_scalarIT1_EEPKiS9_PKS6_iiSB_lS7_PS6_l21rocsparse_index_base_b
	.p2align	8
	.type	_ZN9rocsparseL31gebsrmm_general_blockdim_kernelILi32ELi32E21rocsparse_complex_numIdEEEv20rocsparse_direction_20rocsparse_operation_iiNS_24const_host_device_scalarIT1_EEPKiS9_PKS6_iiSB_lS7_PS6_l21rocsparse_index_base_b,@function
_ZN9rocsparseL31gebsrmm_general_blockdim_kernelILi32ELi32E21rocsparse_complex_numIdEEEv20rocsparse_direction_20rocsparse_operation_iiNS_24const_host_device_scalarIT1_EEPKiS9_PKS6_iiSB_lS7_PS6_l21rocsparse_index_base_b: ; @_ZN9rocsparseL31gebsrmm_general_blockdim_kernelILi32ELi32E21rocsparse_complex_numIdEEEv20rocsparse_direction_20rocsparse_operation_iiNS_24const_host_device_scalarIT1_EEPKiS9_PKS6_iiSB_lS7_PS6_l21rocsparse_index_base_b
; %bb.0:
	s_clause 0x1
	s_load_dwordx2 s[24:25], s[4:5], 0x70
	s_load_dwordx2 s[0:1], s[4:5], 0x10
	s_add_u32 s2, s4, 16
	s_addc_u32 s3, s5, 0
	s_add_u32 s12, s4, 0x50
	s_addc_u32 s13, s5, 0
	s_load_dwordx4 s[8:11], s[4:5], 0x48
	s_waitcnt lgkmcnt(0)
	s_bitcmp1_b32 s25, 0
	s_cselect_b32 s0, s2, s0
	s_cselect_b32 s1, s3, s1
	v_mov_b32_e32 v2, s0
	v_mov_b32_e32 v3, s1
	s_cselect_b32 s0, s12, s10
	s_cselect_b32 s1, s13, s11
	v_mov_b32_e32 v6, s0
	v_mov_b32_e32 v7, s1
	flat_load_dwordx4 v[2:5], v[2:3]
	flat_load_dwordx4 v[6:9], v[6:7]
	s_waitcnt vmcnt(1) lgkmcnt(1)
	v_cmp_eq_f64_e32 vcc_lo, 0, v[2:3]
	v_cmp_eq_f64_e64 s0, 0, v[4:5]
	s_and_b32 s2, vcc_lo, s0
	s_mov_b32 s0, -1
	s_and_saveexec_b32 s1, s2
	s_cbranch_execz .LBB3_2
; %bb.1:
	s_waitcnt vmcnt(0) lgkmcnt(0)
	v_cmp_neq_f64_e32 vcc_lo, 1.0, v[6:7]
	v_cmp_neq_f64_e64 s0, 0, v[8:9]
	s_or_b32 s0, vcc_lo, s0
	s_orn2_b32 s0, s0, exec_lo
.LBB3_2:
	s_or_b32 exec_lo, exec_lo, s1
	s_and_saveexec_b32 s1, s0
	s_cbranch_execz .LBB3_49
; %bb.3:
	s_load_dwordx4 s[16:19], s[4:5], 0x0
	s_mov_b32 s25, 0
	s_waitcnt lgkmcnt(0)
	s_cmp_lt_i32 s6, s18
	s_cselect_b32 s3, -1, 0
	s_cmp_ge_i32 s6, s18
	s_mov_b32 s18, 0
	s_cbranch_scc1 .LBB3_5
; %bb.4:
	s_load_dwordx2 s[10:11], s[4:5], 0x20
	s_mov_b32 s0, s7
	s_ashr_i32 s7, s6, 31
	s_lshl_b64 s[12:13], s[6:7], 2
	s_mov_b32 s7, s0
	s_waitcnt lgkmcnt(0)
	s_add_u32 s0, s10, s12
	s_addc_u32 s1, s11, s13
	s_load_dwordx2 s[0:1], s[0:1], 0x0
	s_waitcnt lgkmcnt(0)
	s_sub_i32 s18, s0, s24
	s_sub_i32 s25, s1, s24
.LBB3_5:
	s_load_dwordx2 s[10:11], s[4:5], 0x38
	s_waitcnt lgkmcnt(0)
	s_cmp_lt_i32 s10, 1
	s_cbranch_scc1 .LBB3_49
; %bb.6:
	s_clause 0x2
	s_load_dwordx4 s[20:23], s[4:5], 0x60
	s_load_dwordx4 s[12:15], s[4:5], 0x28
	s_load_dwordx2 s[26:27], s[4:5], 0x40
	v_lshl_add_u32 v10, s7, 5, v1
	s_waitcnt vmcnt(0)
	v_cmp_neq_f64_e64 s1, 0, v[8:9]
	v_lshlrev_b32_e32 v21, 4, v0
	s_cmp_lt_i32 s18, s25
	s_mul_i32 s4, s10, s6
	v_ashrrev_i32_e32 v11, 31, v10
	v_mul_lo_u32 v18, s9, v10
	v_mad_u64_u32 v[12:13], null, s8, v10, 0
	v_or_b32_e32 v29, 0x4000, v21
	v_lshlrev_b64 v[14:15], 4, v[10:11]
	v_mul_lo_u32 v19, s8, v11
	v_cmp_gt_i32_e64 s0, s19, v10
	s_cselect_b32 s6, -1, 0
	s_cmp_gt_i32 s11, 0
	s_mov_b32 s5, 0
	s_cselect_b32 s7, -1, 0
	s_waitcnt lgkmcnt(0)
	v_mul_lo_u32 v11, s22, v11
	v_mul_lo_u32 v20, s23, v10
	v_mad_u64_u32 v[16:17], null, s22, v10, 0
	v_add_co_u32 v22, vcc_lo, s26, v14
	v_add_co_ci_u32_e64 v23, null, s27, v15, vcc_lo
	v_cmp_neq_f64_e32 vcc_lo, 0, v[6:7]
	v_add3_u32 v13, v13, v19, v18
	v_add3_u32 v17, v17, v11, v20
	v_lshlrev_b32_e32 v10, 9, v1
	s_cmpk_lg_i32 s17, 0x6f
	v_lshlrev_b64 v[11:12], 4, v[12:13]
	v_lshlrev_b64 v[13:14], 4, v[16:17]
	v_add_nc_u32_e32 v28, 0x4000, v10
	v_add_nc_u32_e32 v29, v29, v10
	;; [unrolled: 1-line block ×3, first 2 shown]
	s_cselect_b32 s17, -1, 0
	v_add_co_u32 v24, s2, s26, v11
	v_add_co_ci_u32_e64 v25, null, s27, v12, s2
	v_add_co_u32 v26, s2, s20, v13
	v_add_co_ci_u32_e64 v27, null, s21, v14, s2
	s_cmp_lg_u32 s16, 0
	s_cselect_b32 s16, -1, 0
	s_and_b32 s19, s3, s0
	s_or_b32 s20, vcc_lo, s1
	s_branch .LBB3_8
.LBB3_7:                                ;   in Loop: Header=BB3_8 Depth=1
	s_or_b32 exec_lo, exec_lo, s1
	s_add_i32 s5, s5, 32
	s_cmp_lt_i32 s5, s10
	s_cbranch_scc0 .LBB3_49
.LBB3_8:                                ; =>This Loop Header: Depth=1
                                        ;     Child Loop BB3_11 Depth 2
                                        ;       Child Loop BB3_13 Depth 3
                                        ;         Child Loop BB3_42 Depth 4
	v_add_nc_u32_e32 v14, s5, v0
	v_mov_b32_e32 v15, 0
	v_mov_b32_e32 v17, 0
	;; [unrolled: 1-line block ×4, first 2 shown]
	v_cmp_gt_i32_e64 s1, s10, v14
	s_andn2_b32 vcc_lo, exec_lo, s6
	s_cbranch_vccnz .LBB3_44
; %bb.9:                                ;   in Loop: Header=BB3_8 Depth=1
	v_mov_b32_e32 v15, 0
	v_mov_b32_e32 v17, 0
	;; [unrolled: 1-line block ×4, first 2 shown]
	s_mov_b32 s2, s18
	s_branch .LBB3_11
.LBB3_10:                               ;   in Loop: Header=BB3_11 Depth=2
	s_add_i32 s2, s2, 1
	s_cmp_ge_i32 s2, s25
	s_cbranch_scc1 .LBB3_44
.LBB3_11:                               ;   Parent Loop BB3_8 Depth=1
                                        ; =>  This Loop Header: Depth=2
                                        ;       Child Loop BB3_13 Depth 3
                                        ;         Child Loop BB3_42 Depth 4
	s_andn2_b32 vcc_lo, exec_lo, s7
	s_cbranch_vccnz .LBB3_10
; %bb.12:                               ;   in Loop: Header=BB3_11 Depth=2
	s_ashr_i32 s3, s2, 31
	v_mad_u64_u32 v[10:11], null, s2, s10, v[14:15]
	s_lshl_b64 s[22:23], s[2:3], 2
	s_add_u32 s22, s12, s22
	s_addc_u32 s23, s13, s23
	s_load_dword s3, s[22:23], 0x0
	v_mul_lo_u32 v31, v10, s11
	s_mov_b32 s22, 0
	s_waitcnt lgkmcnt(0)
	s_sub_i32 s21, s3, s24
	s_mul_i32 s3, s2, s11
	s_mul_i32 s21, s21, s11
.LBB3_13:                               ;   Parent Loop BB3_8 Depth=1
                                        ;     Parent Loop BB3_11 Depth=2
                                        ; =>    This Loop Header: Depth=3
                                        ;         Child Loop BB3_42 Depth 4
	s_mov_b32 s26, -1
	s_and_b32 vcc_lo, exec_lo, s17
	s_mov_b32 s23, 0
                                        ; implicit-def: $vgpr19_vgpr20
	s_cbranch_vccz .LBB3_19
; %bb.14:                               ;   in Loop: Header=BB3_13 Depth=3
	s_mov_b32 s26, 0
                                        ; implicit-def: $vgpr19_vgpr20
	s_and_saveexec_b32 s27, s0
	s_cbranch_execz .LBB3_18
; %bb.15:                               ;   in Loop: Header=BB3_13 Depth=3
	v_add_nc_u32_e32 v10, s22, v0
	s_mov_b32 s28, exec_lo
                                        ; implicit-def: $vgpr19_vgpr20
	v_cmpx_gt_i32_e64 s11, v10
	s_xor_b32 s28, exec_lo, s28
	s_cbranch_execz .LBB3_17
; %bb.16:                               ;   in Loop: Header=BB3_13 Depth=3
	v_add_nc_u32_e32 v10, s21, v10
	s_mov_b32 s23, exec_lo
	v_ashrrev_i32_e32 v12, 31, v10
	v_mul_lo_u32 v13, s9, v10
	v_mad_u64_u32 v[10:11], null, s8, v10, 0
	v_mul_lo_u32 v12, s8, v12
	v_add3_u32 v11, v11, v12, v13
	v_lshlrev_b64 v[10:11], 4, v[10:11]
	v_add_co_u32 v19, vcc_lo, v22, v10
	v_add_co_ci_u32_e64 v20, null, v23, v11, vcc_lo
.LBB3_17:                               ;   in Loop: Header=BB3_13 Depth=3
	s_or_b32 exec_lo, exec_lo, s28
	s_and_b32 s23, s23, exec_lo
.LBB3_18:                               ;   in Loop: Header=BB3_13 Depth=3
	s_or_b32 exec_lo, exec_lo, s27
.LBB3_19:                               ;   in Loop: Header=BB3_13 Depth=3
	s_and_b32 vcc_lo, exec_lo, s26
	s_cbranch_vccz .LBB3_25
; %bb.20:                               ;   in Loop: Header=BB3_13 Depth=3
                                        ; implicit-def: $vgpr19_vgpr20
	s_and_saveexec_b32 s26, s0
	s_cbranch_execz .LBB3_24
; %bb.21:                               ;   in Loop: Header=BB3_13 Depth=3
	v_add_nc_u32_e32 v10, s22, v0
	s_mov_b32 s28, s23
	s_mov_b32 s27, exec_lo
                                        ; implicit-def: $vgpr19_vgpr20
	v_cmpx_gt_i32_e64 s11, v10
; %bb.22:                               ;   in Loop: Header=BB3_13 Depth=3
	v_add_nc_u32_e32 v10, s21, v10
	s_or_b32 s28, s23, exec_lo
	v_ashrrev_i32_e32 v11, 31, v10
	v_lshlrev_b64 v[10:11], 4, v[10:11]
	v_add_co_u32 v19, vcc_lo, v24, v10
	v_add_co_ci_u32_e64 v20, null, v25, v11, vcc_lo
; %bb.23:                               ;   in Loop: Header=BB3_13 Depth=3
	s_or_b32 exec_lo, exec_lo, s27
	s_andn2_b32 s23, s23, exec_lo
	s_and_b32 s27, s28, exec_lo
	s_or_b32 s23, s23, s27
.LBB3_24:                               ;   in Loop: Header=BB3_13 Depth=3
	s_or_b32 exec_lo, exec_lo, s26
.LBB3_25:                               ;   in Loop: Header=BB3_13 Depth=3
	v_mov_b32_e32 v10, 0
	v_mov_b32_e32 v12, 0
	;; [unrolled: 1-line block ×4, first 2 shown]
	s_and_saveexec_b32 s26, s23
	s_cbranch_execz .LBB3_27
; %bb.26:                               ;   in Loop: Header=BB3_13 Depth=3
	global_load_dwordx4 v[10:13], v[19:20], off
.LBB3_27:                               ;   in Loop: Header=BB3_13 Depth=3
	s_or_b32 exec_lo, exec_lo, s26
	s_and_b32 vcc_lo, exec_lo, s16
	s_waitcnt vmcnt(0)
	ds_write_b128 v29, v[10:13]
	s_cbranch_vccz .LBB3_33
; %bb.28:                               ;   in Loop: Header=BB3_13 Depth=3
	s_mov_b32 s26, 0
	s_mov_b32 s23, 0
                                        ; implicit-def: $vgpr19
	s_and_saveexec_b32 s27, s1
	s_cbranch_execz .LBB3_32
; %bb.29:                               ;   in Loop: Header=BB3_13 Depth=3
	v_add_nc_u32_e32 v10, s22, v1
	s_mov_b32 s28, exec_lo
                                        ; implicit-def: $vgpr19
	v_cmpx_gt_i32_e64 s11, v10
	s_xor_b32 s28, exec_lo, s28
; %bb.30:                               ;   in Loop: Header=BB3_13 Depth=3
	v_add_nc_u32_e32 v10, s3, v10
	s_mov_b32 s23, exec_lo
	v_mad_u64_u32 v[19:20], null, v10, s10, v[14:15]
; %bb.31:                               ;   in Loop: Header=BB3_13 Depth=3
	s_or_b32 exec_lo, exec_lo, s28
	s_and_b32 s23, s23, exec_lo
.LBB3_32:                               ;   in Loop: Header=BB3_13 Depth=3
	s_or_b32 exec_lo, exec_lo, s27
	s_and_b32 vcc_lo, exec_lo, s26
	s_cbranch_vccnz .LBB3_34
	s_branch .LBB3_39
.LBB3_33:                               ;   in Loop: Header=BB3_13 Depth=3
	s_mov_b32 s23, 0
                                        ; implicit-def: $vgpr19
	s_cbranch_execz .LBB3_39
.LBB3_34:                               ;   in Loop: Header=BB3_13 Depth=3
                                        ; implicit-def: $vgpr19
	s_and_saveexec_b32 s26, s1
	s_cbranch_execz .LBB3_38
; %bb.35:                               ;   in Loop: Header=BB3_13 Depth=3
	v_add_nc_u32_e32 v10, s22, v1
	s_mov_b32 s27, s23
	s_mov_b32 s28, exec_lo
                                        ; implicit-def: $vgpr19
	v_cmpx_gt_i32_e64 s11, v10
; %bb.36:                               ;   in Loop: Header=BB3_13 Depth=3
	v_add_nc_u32_e32 v19, v10, v31
	s_or_b32 s27, s23, exec_lo
; %bb.37:                               ;   in Loop: Header=BB3_13 Depth=3
	s_or_b32 exec_lo, exec_lo, s28
	s_andn2_b32 s23, s23, exec_lo
	s_and_b32 s27, s27, exec_lo
	s_or_b32 s23, s23, s27
.LBB3_38:                               ;   in Loop: Header=BB3_13 Depth=3
	s_or_b32 exec_lo, exec_lo, s26
.LBB3_39:                               ;   in Loop: Header=BB3_13 Depth=3
	v_mov_b32_e32 v10, 0
	v_mov_b32_e32 v12, 0
	;; [unrolled: 1-line block ×4, first 2 shown]
	s_and_saveexec_b32 s26, s23
	s_cbranch_execz .LBB3_41
; %bb.40:                               ;   in Loop: Header=BB3_13 Depth=3
	v_ashrrev_i32_e32 v20, 31, v19
	v_lshlrev_b64 v[10:11], 4, v[19:20]
	v_add_co_u32 v10, vcc_lo, s14, v10
	v_add_co_ci_u32_e64 v11, null, s15, v11, vcc_lo
	global_load_dwordx4 v[10:13], v[10:11], off
.LBB3_41:                               ;   in Loop: Header=BB3_13 Depth=3
	s_or_b32 exec_lo, exec_lo, s26
	s_waitcnt vmcnt(0)
	ds_write_b128 v30, v[10:13]
	v_mov_b32_e32 v10, v21
	s_mov_b32 s23, 0
	s_waitcnt lgkmcnt(0)
	s_barrier
	buffer_gl0_inv
.LBB3_42:                               ;   Parent Loop BB3_8 Depth=1
                                        ;     Parent Loop BB3_11 Depth=2
                                        ;       Parent Loop BB3_13 Depth=3
                                        ; =>      This Inner Loop Header: Depth=4
	v_add_nc_u32_e32 v13, s23, v28
	s_addk_i32 s23, 0x80
	ds_read_b128 v[32:35], v10
	ds_read_b128 v[36:39], v13
	ds_read_b128 v[40:43], v10 offset:512
	ds_read_b128 v[44:47], v13 offset:16
	s_cmpk_eq_i32 s23, 0x200
	s_waitcnt lgkmcnt(2)
	v_fma_f64 v[11:12], v[32:33], v[36:37], v[17:18]
	v_fma_f64 v[15:16], v[34:35], v[36:37], v[15:16]
	v_fma_f64 v[11:12], -v[34:35], v[38:39], v[11:12]
	v_fma_f64 v[15:16], v[32:33], v[38:39], v[15:16]
	s_waitcnt lgkmcnt(0)
	v_fma_f64 v[11:12], v[40:41], v[44:45], v[11:12]
	v_fma_f64 v[19:20], v[42:43], v[44:45], v[15:16]
	ds_read_b128 v[15:18], v10 offset:1024
	v_fma_f64 v[11:12], -v[42:43], v[46:47], v[11:12]
	v_fma_f64 v[19:20], v[40:41], v[46:47], v[19:20]
	ds_read_b128 v[32:35], v13 offset:32
	ds_read_b128 v[36:39], v10 offset:1536
	ds_read_b128 v[40:43], v13 offset:48
	s_waitcnt lgkmcnt(2)
	v_fma_f64 v[11:12], v[15:16], v[32:33], v[11:12]
	v_fma_f64 v[19:20], v[17:18], v[32:33], v[19:20]
	v_fma_f64 v[11:12], -v[17:18], v[34:35], v[11:12]
	v_fma_f64 v[15:16], v[15:16], v[34:35], v[19:20]
	s_waitcnt lgkmcnt(0)
	v_fma_f64 v[11:12], v[36:37], v[40:41], v[11:12]
	v_fma_f64 v[19:20], v[38:39], v[40:41], v[15:16]
	ds_read_b128 v[15:18], v10 offset:2048
	v_fma_f64 v[11:12], -v[38:39], v[42:43], v[11:12]
	v_fma_f64 v[19:20], v[36:37], v[42:43], v[19:20]
	ds_read_b128 v[32:35], v13 offset:64
	ds_read_b128 v[36:39], v10 offset:2560
	ds_read_b128 v[40:43], v13 offset:80
	;; [unrolled: 14-line block ×3, first 2 shown]
	v_add_nc_u32_e32 v10, 0x1000, v10
	s_waitcnt lgkmcnt(2)
	v_fma_f64 v[11:12], v[15:16], v[32:33], v[11:12]
	v_fma_f64 v[19:20], v[17:18], v[32:33], v[19:20]
	v_fma_f64 v[11:12], -v[17:18], v[34:35], v[11:12]
	v_fma_f64 v[15:16], v[15:16], v[34:35], v[19:20]
	s_waitcnt lgkmcnt(0)
	v_fma_f64 v[11:12], v[36:37], v[40:41], v[11:12]
	v_fma_f64 v[15:16], v[38:39], v[40:41], v[15:16]
	v_fma_f64 v[17:18], -v[38:39], v[42:43], v[11:12]
	v_fma_f64 v[15:16], v[36:37], v[42:43], v[15:16]
	s_cbranch_scc0 .LBB3_42
; %bb.43:                               ;   in Loop: Header=BB3_13 Depth=3
	s_add_i32 s22, s22, 32
	s_cmp_ge_i32 s22, s11
	s_barrier
	buffer_gl0_inv
	s_cbranch_scc0 .LBB3_13
	s_branch .LBB3_10
.LBB3_44:                               ;   in Loop: Header=BB3_8 Depth=1
	v_cmp_gt_i32_e32 vcc_lo, s10, v14
	s_and_b32 s2, s19, vcc_lo
	s_and_saveexec_b32 s1, s2
	s_cbranch_execz .LBB3_7
; %bb.45:                               ;   in Loop: Header=BB3_8 Depth=1
	v_mul_f64 v[10:11], v[15:16], -v[4:5]
	v_mul_f64 v[12:13], v[2:3], v[15:16]
	v_add_nc_u32_e32 v14, s4, v14
	v_ashrrev_i32_e32 v15, 31, v14
	v_fma_f64 v[10:11], v[2:3], v[17:18], v[10:11]
	v_fma_f64 v[12:13], v[4:5], v[17:18], v[12:13]
	s_and_saveexec_b32 s2, s20
	s_xor_b32 s2, exec_lo, s2
	s_cbranch_execz .LBB3_47
; %bb.46:                               ;   in Loop: Header=BB3_8 Depth=1
	v_lshlrev_b64 v[14:15], 4, v[14:15]
	v_add_co_u32 v18, vcc_lo, v26, v14
	v_add_co_ci_u32_e64 v19, null, v27, v15, vcc_lo
	global_load_dwordx4 v[14:17], v[18:19], off
	s_waitcnt vmcnt(0)
	v_fma_f64 v[10:11], v[6:7], v[14:15], v[10:11]
	v_fma_f64 v[12:13], v[8:9], v[14:15], v[12:13]
                                        ; implicit-def: $vgpr14
	v_fma_f64 v[10:11], -v[8:9], v[16:17], v[10:11]
	v_fma_f64 v[12:13], v[6:7], v[16:17], v[12:13]
	global_store_dwordx4 v[18:19], v[10:13], off
                                        ; implicit-def: $vgpr10_vgpr11
.LBB3_47:                               ;   in Loop: Header=BB3_8 Depth=1
	s_andn2_saveexec_b32 s2, s2
	s_cbranch_execz .LBB3_7
; %bb.48:                               ;   in Loop: Header=BB3_8 Depth=1
	v_lshlrev_b64 v[14:15], 4, v[14:15]
	v_add_co_u32 v14, vcc_lo, v26, v14
	v_add_co_ci_u32_e64 v15, null, v27, v15, vcc_lo
	global_store_dwordx4 v[14:15], v[10:13], off
	s_branch .LBB3_7
.LBB3_49:
	s_endpgm
	.section	.rodata,"a",@progbits
	.p2align	6, 0x0
	.amdhsa_kernel _ZN9rocsparseL31gebsrmm_general_blockdim_kernelILi32ELi32E21rocsparse_complex_numIdEEEv20rocsparse_direction_20rocsparse_operation_iiNS_24const_host_device_scalarIT1_EEPKiS9_PKS6_iiSB_lS7_PS6_l21rocsparse_index_base_b
		.amdhsa_group_segment_fixed_size 32768
		.amdhsa_private_segment_fixed_size 0
		.amdhsa_kernarg_size 120
		.amdhsa_user_sgpr_count 6
		.amdhsa_user_sgpr_private_segment_buffer 1
		.amdhsa_user_sgpr_dispatch_ptr 0
		.amdhsa_user_sgpr_queue_ptr 0
		.amdhsa_user_sgpr_kernarg_segment_ptr 1
		.amdhsa_user_sgpr_dispatch_id 0
		.amdhsa_user_sgpr_flat_scratch_init 0
		.amdhsa_user_sgpr_private_segment_size 0
		.amdhsa_wavefront_size32 1
		.amdhsa_uses_dynamic_stack 0
		.amdhsa_system_sgpr_private_segment_wavefront_offset 0
		.amdhsa_system_sgpr_workgroup_id_x 1
		.amdhsa_system_sgpr_workgroup_id_y 1
		.amdhsa_system_sgpr_workgroup_id_z 0
		.amdhsa_system_sgpr_workgroup_info 0
		.amdhsa_system_vgpr_workitem_id 1
		.amdhsa_next_free_vgpr 48
		.amdhsa_next_free_sgpr 29
		.amdhsa_reserve_vcc 1
		.amdhsa_reserve_flat_scratch 0
		.amdhsa_float_round_mode_32 0
		.amdhsa_float_round_mode_16_64 0
		.amdhsa_float_denorm_mode_32 3
		.amdhsa_float_denorm_mode_16_64 3
		.amdhsa_dx10_clamp 1
		.amdhsa_ieee_mode 1
		.amdhsa_fp16_overflow 0
		.amdhsa_workgroup_processor_mode 1
		.amdhsa_memory_ordered 1
		.amdhsa_forward_progress 1
		.amdhsa_shared_vgpr_count 0
		.amdhsa_exception_fp_ieee_invalid_op 0
		.amdhsa_exception_fp_denorm_src 0
		.amdhsa_exception_fp_ieee_div_zero 0
		.amdhsa_exception_fp_ieee_overflow 0
		.amdhsa_exception_fp_ieee_underflow 0
		.amdhsa_exception_fp_ieee_inexact 0
		.amdhsa_exception_int_div_zero 0
	.end_amdhsa_kernel
	.section	.text._ZN9rocsparseL31gebsrmm_general_blockdim_kernelILi32ELi32E21rocsparse_complex_numIdEEEv20rocsparse_direction_20rocsparse_operation_iiNS_24const_host_device_scalarIT1_EEPKiS9_PKS6_iiSB_lS7_PS6_l21rocsparse_index_base_b,"axG",@progbits,_ZN9rocsparseL31gebsrmm_general_blockdim_kernelILi32ELi32E21rocsparse_complex_numIdEEEv20rocsparse_direction_20rocsparse_operation_iiNS_24const_host_device_scalarIT1_EEPKiS9_PKS6_iiSB_lS7_PS6_l21rocsparse_index_base_b,comdat
.Lfunc_end3:
	.size	_ZN9rocsparseL31gebsrmm_general_blockdim_kernelILi32ELi32E21rocsparse_complex_numIdEEEv20rocsparse_direction_20rocsparse_operation_iiNS_24const_host_device_scalarIT1_EEPKiS9_PKS6_iiSB_lS7_PS6_l21rocsparse_index_base_b, .Lfunc_end3-_ZN9rocsparseL31gebsrmm_general_blockdim_kernelILi32ELi32E21rocsparse_complex_numIdEEEv20rocsparse_direction_20rocsparse_operation_iiNS_24const_host_device_scalarIT1_EEPKiS9_PKS6_iiSB_lS7_PS6_l21rocsparse_index_base_b
                                        ; -- End function
	.set _ZN9rocsparseL31gebsrmm_general_blockdim_kernelILi32ELi32E21rocsparse_complex_numIdEEEv20rocsparse_direction_20rocsparse_operation_iiNS_24const_host_device_scalarIT1_EEPKiS9_PKS6_iiSB_lS7_PS6_l21rocsparse_index_base_b.num_vgpr, 48
	.set _ZN9rocsparseL31gebsrmm_general_blockdim_kernelILi32ELi32E21rocsparse_complex_numIdEEEv20rocsparse_direction_20rocsparse_operation_iiNS_24const_host_device_scalarIT1_EEPKiS9_PKS6_iiSB_lS7_PS6_l21rocsparse_index_base_b.num_agpr, 0
	.set _ZN9rocsparseL31gebsrmm_general_blockdim_kernelILi32ELi32E21rocsparse_complex_numIdEEEv20rocsparse_direction_20rocsparse_operation_iiNS_24const_host_device_scalarIT1_EEPKiS9_PKS6_iiSB_lS7_PS6_l21rocsparse_index_base_b.numbered_sgpr, 29
	.set _ZN9rocsparseL31gebsrmm_general_blockdim_kernelILi32ELi32E21rocsparse_complex_numIdEEEv20rocsparse_direction_20rocsparse_operation_iiNS_24const_host_device_scalarIT1_EEPKiS9_PKS6_iiSB_lS7_PS6_l21rocsparse_index_base_b.num_named_barrier, 0
	.set _ZN9rocsparseL31gebsrmm_general_blockdim_kernelILi32ELi32E21rocsparse_complex_numIdEEEv20rocsparse_direction_20rocsparse_operation_iiNS_24const_host_device_scalarIT1_EEPKiS9_PKS6_iiSB_lS7_PS6_l21rocsparse_index_base_b.private_seg_size, 0
	.set _ZN9rocsparseL31gebsrmm_general_blockdim_kernelILi32ELi32E21rocsparse_complex_numIdEEEv20rocsparse_direction_20rocsparse_operation_iiNS_24const_host_device_scalarIT1_EEPKiS9_PKS6_iiSB_lS7_PS6_l21rocsparse_index_base_b.uses_vcc, 1
	.set _ZN9rocsparseL31gebsrmm_general_blockdim_kernelILi32ELi32E21rocsparse_complex_numIdEEEv20rocsparse_direction_20rocsparse_operation_iiNS_24const_host_device_scalarIT1_EEPKiS9_PKS6_iiSB_lS7_PS6_l21rocsparse_index_base_b.uses_flat_scratch, 0
	.set _ZN9rocsparseL31gebsrmm_general_blockdim_kernelILi32ELi32E21rocsparse_complex_numIdEEEv20rocsparse_direction_20rocsparse_operation_iiNS_24const_host_device_scalarIT1_EEPKiS9_PKS6_iiSB_lS7_PS6_l21rocsparse_index_base_b.has_dyn_sized_stack, 0
	.set _ZN9rocsparseL31gebsrmm_general_blockdim_kernelILi32ELi32E21rocsparse_complex_numIdEEEv20rocsparse_direction_20rocsparse_operation_iiNS_24const_host_device_scalarIT1_EEPKiS9_PKS6_iiSB_lS7_PS6_l21rocsparse_index_base_b.has_recursion, 0
	.set _ZN9rocsparseL31gebsrmm_general_blockdim_kernelILi32ELi32E21rocsparse_complex_numIdEEEv20rocsparse_direction_20rocsparse_operation_iiNS_24const_host_device_scalarIT1_EEPKiS9_PKS6_iiSB_lS7_PS6_l21rocsparse_index_base_b.has_indirect_call, 0
	.section	.AMDGPU.csdata,"",@progbits
; Kernel info:
; codeLenInByte = 1908
; TotalNumSgprs: 31
; NumVgprs: 48
; ScratchSize: 0
; MemoryBound: 1
; FloatMode: 240
; IeeeMode: 1
; LDSByteSize: 32768 bytes/workgroup (compile time only)
; SGPRBlocks: 0
; VGPRBlocks: 5
; NumSGPRsForWavesPerEU: 31
; NumVGPRsForWavesPerEU: 48
; Occupancy: 16
; WaveLimiterHint : 0
; COMPUTE_PGM_RSRC2:SCRATCH_EN: 0
; COMPUTE_PGM_RSRC2:USER_SGPR: 6
; COMPUTE_PGM_RSRC2:TRAP_HANDLER: 0
; COMPUTE_PGM_RSRC2:TGID_X_EN: 1
; COMPUTE_PGM_RSRC2:TGID_Y_EN: 1
; COMPUTE_PGM_RSRC2:TGID_Z_EN: 0
; COMPUTE_PGM_RSRC2:TIDIG_COMP_CNT: 1
	.section	.AMDGPU.gpr_maximums,"",@progbits
	.set amdgpu.max_num_vgpr, 0
	.set amdgpu.max_num_agpr, 0
	.set amdgpu.max_num_sgpr, 0
	.section	.AMDGPU.csdata,"",@progbits
	.type	__hip_cuid_7845045662b30e12,@object ; @__hip_cuid_7845045662b30e12
	.section	.bss,"aw",@nobits
	.globl	__hip_cuid_7845045662b30e12
__hip_cuid_7845045662b30e12:
	.byte	0                               ; 0x0
	.size	__hip_cuid_7845045662b30e12, 1

	.ident	"AMD clang version 22.0.0git (https://github.com/RadeonOpenCompute/llvm-project roc-7.2.4 26084 f58b06dce1f9c15707c5f808fd002e18c2accf7e)"
	.section	".note.GNU-stack","",@progbits
	.addrsig
	.addrsig_sym __hip_cuid_7845045662b30e12
	.amdgpu_metadata
---
amdhsa.kernels:
  - .args:
      - .offset:         0
        .size:           4
        .value_kind:     by_value
      - .offset:         4
        .size:           4
        .value_kind:     by_value
      - .offset:         8
        .size:           4
        .value_kind:     by_value
      - .offset:         12
        .size:           4
        .value_kind:     by_value
      - .offset:         16
        .size:           8
        .value_kind:     by_value
      - .actual_access:  read_only
        .address_space:  global
        .offset:         24
        .size:           8
        .value_kind:     global_buffer
      - .actual_access:  read_only
        .address_space:  global
        .offset:         32
        .size:           8
        .value_kind:     global_buffer
      - .actual_access:  read_only
        .address_space:  global
        .offset:         40
        .size:           8
        .value_kind:     global_buffer
      - .offset:         48
        .size:           4
        .value_kind:     by_value
      - .offset:         52
        .size:           4
        .value_kind:     by_value
      - .actual_access:  read_only
        .address_space:  global
        .offset:         56
        .size:           8
        .value_kind:     global_buffer
      - .offset:         64
        .size:           8
        .value_kind:     by_value
      - .offset:         72
        .size:           8
        .value_kind:     by_value
      - .address_space:  global
        .offset:         80
        .size:           8
        .value_kind:     global_buffer
      - .offset:         88
        .size:           8
        .value_kind:     by_value
      - .offset:         96
        .size:           4
        .value_kind:     by_value
      - .offset:         100
        .size:           1
        .value_kind:     by_value
    .group_segment_fixed_size: 8192
    .kernarg_segment_align: 8
    .kernarg_segment_size: 104
    .language:       OpenCL C
    .language_version:
      - 2
      - 0
    .max_flat_workgroup_size: 1024
    .name:           _ZN9rocsparseL31gebsrmm_general_blockdim_kernelILi32ELi32EfEEv20rocsparse_direction_20rocsparse_operation_iiNS_24const_host_device_scalarIT1_EEPKiS7_PKS4_iiS9_lS5_PS4_l21rocsparse_index_base_b
    .private_segment_fixed_size: 0
    .sgpr_count:     34
    .sgpr_spill_count: 0
    .symbol:         _ZN9rocsparseL31gebsrmm_general_blockdim_kernelILi32ELi32EfEEv20rocsparse_direction_20rocsparse_operation_iiNS_24const_host_device_scalarIT1_EEPKiS7_PKS4_iiS9_lS5_PS4_l21rocsparse_index_base_b.kd
    .uniform_work_group_size: 1
    .uses_dynamic_stack: false
    .vgpr_count:     34
    .vgpr_spill_count: 0
    .wavefront_size: 32
    .workgroup_processor_mode: 1
  - .args:
      - .offset:         0
        .size:           4
        .value_kind:     by_value
      - .offset:         4
        .size:           4
        .value_kind:     by_value
      - .offset:         8
        .size:           4
        .value_kind:     by_value
      - .offset:         12
        .size:           4
        .value_kind:     by_value
      - .offset:         16
        .size:           8
        .value_kind:     by_value
      - .actual_access:  read_only
        .address_space:  global
        .offset:         24
        .size:           8
        .value_kind:     global_buffer
      - .actual_access:  read_only
        .address_space:  global
        .offset:         32
        .size:           8
        .value_kind:     global_buffer
      - .actual_access:  read_only
        .address_space:  global
        .offset:         40
        .size:           8
        .value_kind:     global_buffer
      - .offset:         48
        .size:           4
        .value_kind:     by_value
      - .offset:         52
        .size:           4
        .value_kind:     by_value
      - .actual_access:  read_only
        .address_space:  global
        .offset:         56
        .size:           8
        .value_kind:     global_buffer
      - .offset:         64
        .size:           8
        .value_kind:     by_value
      - .offset:         72
        .size:           8
        .value_kind:     by_value
      - .address_space:  global
        .offset:         80
        .size:           8
        .value_kind:     global_buffer
      - .offset:         88
        .size:           8
        .value_kind:     by_value
      - .offset:         96
        .size:           4
        .value_kind:     by_value
      - .offset:         100
        .size:           1
        .value_kind:     by_value
    .group_segment_fixed_size: 16384
    .kernarg_segment_align: 8
    .kernarg_segment_size: 104
    .language:       OpenCL C
    .language_version:
      - 2
      - 0
    .max_flat_workgroup_size: 1024
    .name:           _ZN9rocsparseL31gebsrmm_general_blockdim_kernelILi32ELi32EdEEv20rocsparse_direction_20rocsparse_operation_iiNS_24const_host_device_scalarIT1_EEPKiS7_PKS4_iiS9_lS5_PS4_l21rocsparse_index_base_b
    .private_segment_fixed_size: 0
    .sgpr_count:     32
    .sgpr_spill_count: 0
    .symbol:         _ZN9rocsparseL31gebsrmm_general_blockdim_kernelILi32ELi32EdEEv20rocsparse_direction_20rocsparse_operation_iiNS_24const_host_device_scalarIT1_EEPKiS7_PKS4_iiS9_lS5_PS4_l21rocsparse_index_base_b.kd
    .uniform_work_group_size: 1
    .uses_dynamic_stack: false
    .vgpr_count:     41
    .vgpr_spill_count: 0
    .wavefront_size: 32
    .workgroup_processor_mode: 1
  - .args:
      - .offset:         0
        .size:           4
        .value_kind:     by_value
      - .offset:         4
        .size:           4
        .value_kind:     by_value
      - .offset:         8
        .size:           4
        .value_kind:     by_value
      - .offset:         12
        .size:           4
        .value_kind:     by_value
      - .offset:         16
        .size:           8
        .value_kind:     by_value
      - .actual_access:  read_only
        .address_space:  global
        .offset:         24
        .size:           8
        .value_kind:     global_buffer
      - .actual_access:  read_only
        .address_space:  global
        .offset:         32
        .size:           8
        .value_kind:     global_buffer
      - .actual_access:  read_only
        .address_space:  global
        .offset:         40
        .size:           8
        .value_kind:     global_buffer
      - .offset:         48
        .size:           4
        .value_kind:     by_value
      - .offset:         52
        .size:           4
        .value_kind:     by_value
      - .actual_access:  read_only
        .address_space:  global
        .offset:         56
        .size:           8
        .value_kind:     global_buffer
      - .offset:         64
        .size:           8
        .value_kind:     by_value
      - .offset:         72
        .size:           8
        .value_kind:     by_value
      - .address_space:  global
        .offset:         80
        .size:           8
        .value_kind:     global_buffer
      - .offset:         88
        .size:           8
        .value_kind:     by_value
      - .offset:         96
        .size:           4
        .value_kind:     by_value
      - .offset:         100
        .size:           1
        .value_kind:     by_value
    .group_segment_fixed_size: 16384
    .kernarg_segment_align: 8
    .kernarg_segment_size: 104
    .language:       OpenCL C
    .language_version:
      - 2
      - 0
    .max_flat_workgroup_size: 1024
    .name:           _ZN9rocsparseL31gebsrmm_general_blockdim_kernelILi32ELi32E21rocsparse_complex_numIfEEEv20rocsparse_direction_20rocsparse_operation_iiNS_24const_host_device_scalarIT1_EEPKiS9_PKS6_iiSB_lS7_PS6_l21rocsparse_index_base_b
    .private_segment_fixed_size: 0
    .sgpr_count:     32
    .sgpr_spill_count: 0
    .symbol:         _ZN9rocsparseL31gebsrmm_general_blockdim_kernelILi32ELi32E21rocsparse_complex_numIfEEEv20rocsparse_direction_20rocsparse_operation_iiNS_24const_host_device_scalarIT1_EEPKiS9_PKS6_iiSB_lS7_PS6_l21rocsparse_index_base_b.kd
    .uniform_work_group_size: 1
    .uses_dynamic_stack: false
    .vgpr_count:     42
    .vgpr_spill_count: 0
    .wavefront_size: 32
    .workgroup_processor_mode: 1
  - .args:
      - .offset:         0
        .size:           4
        .value_kind:     by_value
      - .offset:         4
        .size:           4
        .value_kind:     by_value
      - .offset:         8
        .size:           4
        .value_kind:     by_value
      - .offset:         12
        .size:           4
        .value_kind:     by_value
      - .offset:         16
        .size:           16
        .value_kind:     by_value
      - .actual_access:  read_only
        .address_space:  global
        .offset:         32
        .size:           8
        .value_kind:     global_buffer
      - .actual_access:  read_only
        .address_space:  global
        .offset:         40
        .size:           8
        .value_kind:     global_buffer
      - .actual_access:  read_only
        .address_space:  global
        .offset:         48
        .size:           8
        .value_kind:     global_buffer
      - .offset:         56
        .size:           4
        .value_kind:     by_value
      - .offset:         60
        .size:           4
        .value_kind:     by_value
      - .actual_access:  read_only
        .address_space:  global
        .offset:         64
        .size:           8
        .value_kind:     global_buffer
      - .offset:         72
        .size:           8
        .value_kind:     by_value
      - .offset:         80
        .size:           16
        .value_kind:     by_value
      - .address_space:  global
        .offset:         96
        .size:           8
        .value_kind:     global_buffer
      - .offset:         104
        .size:           8
        .value_kind:     by_value
      - .offset:         112
        .size:           4
        .value_kind:     by_value
      - .offset:         116
        .size:           1
        .value_kind:     by_value
    .group_segment_fixed_size: 32768
    .kernarg_segment_align: 8
    .kernarg_segment_size: 120
    .language:       OpenCL C
    .language_version:
      - 2
      - 0
    .max_flat_workgroup_size: 1024
    .name:           _ZN9rocsparseL31gebsrmm_general_blockdim_kernelILi32ELi32E21rocsparse_complex_numIdEEEv20rocsparse_direction_20rocsparse_operation_iiNS_24const_host_device_scalarIT1_EEPKiS9_PKS6_iiSB_lS7_PS6_l21rocsparse_index_base_b
    .private_segment_fixed_size: 0
    .sgpr_count:     31
    .sgpr_spill_count: 0
    .symbol:         _ZN9rocsparseL31gebsrmm_general_blockdim_kernelILi32ELi32E21rocsparse_complex_numIdEEEv20rocsparse_direction_20rocsparse_operation_iiNS_24const_host_device_scalarIT1_EEPKiS9_PKS6_iiSB_lS7_PS6_l21rocsparse_index_base_b.kd
    .uniform_work_group_size: 1
    .uses_dynamic_stack: false
    .vgpr_count:     48
    .vgpr_spill_count: 0
    .wavefront_size: 32
    .workgroup_processor_mode: 1
amdhsa.target:   amdgcn-amd-amdhsa--gfx1030
amdhsa.version:
  - 1
  - 2
...

	.end_amdgpu_metadata
